;; amdgpu-corpus repo=ROCm/rocFFT kind=compiled arch=gfx906 opt=O3
	.text
	.amdgcn_target "amdgcn-amd-amdhsa--gfx906"
	.amdhsa_code_object_version 6
	.protected	bluestein_single_fwd_len1440_dim1_half_op_CI_CI ; -- Begin function bluestein_single_fwd_len1440_dim1_half_op_CI_CI
	.globl	bluestein_single_fwd_len1440_dim1_half_op_CI_CI
	.p2align	8
	.type	bluestein_single_fwd_len1440_dim1_half_op_CI_CI,@function
bluestein_single_fwd_len1440_dim1_half_op_CI_CI: ; @bluestein_single_fwd_len1440_dim1_half_op_CI_CI
; %bb.0:
	s_load_dwordx4 s[12:15], s[4:5], 0x28
	v_mul_u32_u24_e32 v1, 0x2d9, v0
	v_mov_b32_e32 v18, 0
	v_add_u32_sdwa v19, s6, v1 dst_sel:DWORD dst_unused:UNUSED_PAD src0_sel:DWORD src1_sel:WORD_1
	v_mov_b32_e32 v20, v18
	s_waitcnt lgkmcnt(0)
	v_cmp_gt_u64_e32 vcc, s[12:13], v[19:20]
	s_and_saveexec_b64 s[0:1], vcc
	s_cbranch_execz .LBB0_31
; %bb.1:
	s_load_dwordx4 s[0:3], s[4:5], 0x18
	s_load_dwordx2 s[16:17], s[4:5], 0x0
	s_waitcnt lgkmcnt(0)
	s_load_dwordx4 s[8:11], s[0:1], 0x0
	s_movk_i32 s0, 0x5a
	v_mul_lo_u16_sdwa v1, v1, s0 dst_sel:DWORD dst_unused:UNUSED_PAD src0_sel:WORD_1 src1_sel:DWORD
	v_sub_u16_e32 v17, v0, v1
	v_lshlrev_b32_e32 v64, 2, v17
	s_waitcnt lgkmcnt(0)
	v_mad_u64_u32 v[0:1], s[0:1], s10, v19, 0
	v_mad_u64_u32 v[2:3], s[0:1], s8, v17, 0
	v_or_b32_e32 v66, 0x480, v17
	v_lshlrev_b32_e32 v61, 2, v66
	v_mad_u64_u32 v[4:5], s[0:1], s11, v19, v[1:2]
	v_mad_u64_u32 v[5:6], s[0:1], s9, v17, v[3:4]
	v_mov_b32_e32 v1, v4
	v_lshlrev_b64 v[0:1], 2, v[0:1]
	v_mov_b32_e32 v6, s15
	v_mov_b32_e32 v3, v5
	v_add_co_u32_e32 v7, vcc, s14, v0
	v_addc_co_u32_e32 v6, vcc, v6, v1, vcc
	v_lshlrev_b64 v[0:1], 2, v[2:3]
	s_mul_i32 s0, s9, 0x90
	v_add_co_u32_e32 v0, vcc, v7, v0
	v_addc_co_u32_e32 v1, vcc, v6, v1, vcc
	s_mul_hi_u32 s1, s8, 0x90
	v_mov_b32_e32 v2, s17
	v_add_co_u32_e32 v15, vcc, s16, v64
	s_add_i32 s1, s1, s0
	s_mul_i32 s0, s8, 0x90
	v_addc_co_u32_e32 v16, vcc, 0, v2, vcc
	s_lshl_b64 s[6:7], s[0:1], 2
	v_mov_b32_e32 v8, s7
	v_add_co_u32_e32 v2, vcc, s6, v0
	v_addc_co_u32_e32 v3, vcc, v1, v8, vcc
	global_load_dword v9, v[0:1], off
	global_load_dword v10, v[2:3], off
	global_load_dword v75, v64, s[16:17]
	global_load_dword v74, v64, s[16:17] offset:576
	v_add_co_u32_e32 v0, vcc, s6, v2
	v_addc_co_u32_e32 v1, vcc, v3, v8, vcc
	v_add_co_u32_e32 v2, vcc, s6, v0
	v_addc_co_u32_e32 v3, vcc, v1, v8, vcc
	;; [unrolled: 2-line block ×3, first 2 shown]
	global_load_dword v11, v[0:1], off
	global_load_dword v12, v[2:3], off
	;; [unrolled: 1-line block ×3, first 2 shown]
	global_load_dword v73, v64, s[16:17] offset:1152
	global_load_dword v72, v64, s[16:17] offset:1728
	;; [unrolled: 1-line block ×3, first 2 shown]
	v_add_co_u32_e32 v0, vcc, s6, v4
	v_mad_u64_u32 v[2:3], s[0:1], s8, v66, 0
	v_addc_co_u32_e32 v1, vcc, v5, v8, vcc
	global_load_dword v5, v[0:1], off
	global_load_dword v70, v64, s[16:17] offset:2880
	v_mad_u64_u32 v[3:4], s[0:1], s9, v66, v[3:4]
	v_add_co_u32_e32 v0, vcc, s6, v0
	v_addc_co_u32_e32 v1, vcc, v1, v8, vcc
	global_load_dword v14, v[0:1], off
	v_add_co_u32_e32 v0, vcc, s6, v0
	v_addc_co_u32_e32 v1, vcc, v1, v8, vcc
	v_lshlrev_b64 v[2:3], 2, v[2:3]
	global_load_dword v8, v[0:1], off
	global_load_dword v69, v64, s[16:17] offset:3456
	global_load_dword v68, v64, s[16:17] offset:4032
	v_add_co_u32_e32 v2, vcc, v7, v2
	v_addc_co_u32_e32 v3, vcc, v6, v3, vcc
	global_load_dword v7, v[2:3], off
	v_mov_b32_e32 v2, 0x480
	v_mad_u64_u32 v[2:3], s[0:1], s8, v2, v[0:1]
	global_load_dword v67, v61, s[16:17]
	s_mul_i32 s0, s9, 0x480
	v_add_u32_e32 v3, s0, v3
	s_movk_i32 s0, 0x1000
	v_add_co_u32_e32 v0, vcc, s0, v15
	global_load_dword v20, v[2:3], off
	v_addc_co_u32_e32 v1, vcc, 0, v16, vcc
	global_load_dword v65, v[0:1], off offset:1088
	s_load_dwordx2 s[10:11], s[4:5], 0x38
	s_load_dwordx4 s[12:15], s[2:3], 0x0
	v_cmp_gt_u16_e64 s[0:1], 54, v17
	s_waitcnt vmcnt(19)
	v_lshrrev_b32_e32 v4, 16, v9
	s_waitcnt vmcnt(17)
	v_mul_f16_sdwa v6, v75, v4 dst_sel:DWORD dst_unused:UNUSED_PAD src0_sel:WORD_1 src1_sel:DWORD
	v_fma_f16 v6, v75, v9, v6
	v_mul_f16_sdwa v9, v75, v9 dst_sel:DWORD dst_unused:UNUSED_PAD src0_sel:WORD_1 src1_sel:DWORD
	v_fma_f16 v4, v75, v4, -v9
	v_pack_b32_f16 v4, v6, v4
	v_lshrrev_b32_e32 v6, 16, v10
	s_waitcnt vmcnt(16)
	v_mul_f16_sdwa v9, v74, v6 dst_sel:DWORD dst_unused:UNUSED_PAD src0_sel:WORD_1 src1_sel:DWORD
	v_fma_f16 v9, v74, v10, v9
	v_mul_f16_sdwa v10, v74, v10 dst_sel:DWORD dst_unused:UNUSED_PAD src0_sel:WORD_1 src1_sel:DWORD
	v_fma_f16 v6, v74, v6, -v10
	v_pack_b32_f16 v6, v9, v6
	ds_write2_b32 v64, v4, v6 offset1:144
	s_waitcnt vmcnt(15)
	v_lshrrev_b32_e32 v4, 16, v11
	s_waitcnt vmcnt(12)
	v_mul_f16_sdwa v6, v73, v4 dst_sel:DWORD dst_unused:UNUSED_PAD src0_sel:WORD_1 src1_sel:DWORD
	v_mul_f16_sdwa v9, v73, v11 dst_sel:DWORD dst_unused:UNUSED_PAD src0_sel:WORD_1 src1_sel:DWORD
	v_fma_f16 v6, v73, v11, v6
	v_fma_f16 v4, v73, v4, -v9
	v_pack_b32_f16 v6, v6, v4
	v_lshrrev_b32_e32 v4, 16, v12
	s_waitcnt vmcnt(11)
	v_mul_f16_sdwa v9, v72, v4 dst_sel:DWORD dst_unused:UNUSED_PAD src0_sel:WORD_1 src1_sel:DWORD
	v_mul_f16_sdwa v10, v72, v12 dst_sel:DWORD dst_unused:UNUSED_PAD src0_sel:WORD_1 src1_sel:DWORD
	v_fma_f16 v9, v72, v12, v9
	v_fma_f16 v4, v72, v4, -v10
	v_pack_b32_f16 v9, v9, v4
	v_add_u32_e32 v4, 0x400, v64
	ds_write2_b32 v4, v6, v9 offset0:32 offset1:176
	v_lshrrev_b32_e32 v6, 16, v13
	s_waitcnt vmcnt(10)
	v_mul_f16_sdwa v9, v71, v6 dst_sel:DWORD dst_unused:UNUSED_PAD src0_sel:WORD_1 src1_sel:DWORD
	v_mul_f16_sdwa v10, v71, v13 dst_sel:DWORD dst_unused:UNUSED_PAD src0_sel:WORD_1 src1_sel:DWORD
	v_fma_f16 v9, v71, v13, v9
	v_fma_f16 v6, v71, v6, -v10
	v_pack_b32_f16 v6, v9, v6
	s_waitcnt vmcnt(9)
	v_lshrrev_b32_e32 v9, 16, v5
	s_waitcnt vmcnt(8)
	v_mul_f16_sdwa v10, v70, v9 dst_sel:DWORD dst_unused:UNUSED_PAD src0_sel:WORD_1 src1_sel:DWORD
	v_fma_f16 v10, v70, v5, v10
	v_mul_f16_sdwa v5, v70, v5 dst_sel:DWORD dst_unused:UNUSED_PAD src0_sel:WORD_1 src1_sel:DWORD
	v_fma_f16 v5, v70, v9, -v5
	v_pack_b32_f16 v9, v10, v5
	v_add_u32_e32 v5, 0x800, v64
	ds_write2_b32 v5, v6, v9 offset0:64 offset1:208
	s_waitcnt vmcnt(7)
	v_lshrrev_b32_e32 v6, 16, v14
	s_waitcnt vmcnt(5)
	v_mul_f16_sdwa v9, v69, v6 dst_sel:DWORD dst_unused:UNUSED_PAD src0_sel:WORD_1 src1_sel:DWORD
	v_mul_f16_sdwa v10, v69, v14 dst_sel:DWORD dst_unused:UNUSED_PAD src0_sel:WORD_1 src1_sel:DWORD
	v_fma_f16 v9, v69, v14, v9
	v_fma_f16 v6, v69, v6, -v10
	v_pack_b32_f16 v9, v9, v6
	v_lshrrev_b32_e32 v6, 16, v8
	s_waitcnt vmcnt(4)
	v_mul_f16_sdwa v10, v68, v6 dst_sel:DWORD dst_unused:UNUSED_PAD src0_sel:WORD_1 src1_sel:DWORD
	v_fma_f16 v10, v68, v8, v10
	v_mul_f16_sdwa v8, v68, v8 dst_sel:DWORD dst_unused:UNUSED_PAD src0_sel:WORD_1 src1_sel:DWORD
	v_fma_f16 v6, v68, v6, -v8
	v_pack_b32_f16 v8, v10, v6
	v_add_u32_e32 v6, 0xc00, v64
	ds_write2_b32 v6, v9, v8 offset0:96 offset1:240
	s_waitcnt vmcnt(3)
	v_lshrrev_b32_e32 v8, 16, v7
	s_waitcnt vmcnt(2)
	v_mul_f16_sdwa v9, v67, v8 dst_sel:DWORD dst_unused:UNUSED_PAD src0_sel:WORD_1 src1_sel:DWORD
	v_fma_f16 v9, v67, v7, v9
	v_mul_f16_sdwa v7, v67, v7 dst_sel:DWORD dst_unused:UNUSED_PAD src0_sel:WORD_1 src1_sel:DWORD
	v_fma_f16 v7, v67, v8, -v7
	v_pack_b32_f16 v8, v9, v7
	s_waitcnt vmcnt(1)
	v_lshrrev_b32_e32 v7, 16, v20
	s_waitcnt vmcnt(0)
	v_mul_f16_sdwa v9, v65, v7 dst_sel:DWORD dst_unused:UNUSED_PAD src0_sel:WORD_1 src1_sel:DWORD
	v_mul_f16_sdwa v10, v65, v20 dst_sel:DWORD dst_unused:UNUSED_PAD src0_sel:WORD_1 src1_sel:DWORD
	v_fma_f16 v9, v65, v20, v9
	v_fma_f16 v7, v65, v7, -v10
	v_pack_b32_f16 v9, v9, v7
	v_add_u32_e32 v7, 0x1200, v64
	ds_write2_b32 v7, v8, v9 offset1:144
	s_and_saveexec_b64 s[2:3], s[0:1]
	s_cbranch_execz .LBB0_3
; %bb.2:
	v_mov_b32_e32 v8, 0xffffed28
	v_mad_u64_u32 v[2:3], s[18:19], s8, v8, v[2:3]
	s_mulk_i32 s9, 0xed28
	s_sub_i32 s8, s9, s8
	v_add_u32_e32 v3, s8, v3
	global_load_dword v8, v[2:3], off
	global_load_dword v9, v[15:16], off offset:360
	v_mov_b32_e32 v10, s7
	v_add_co_u32_e32 v2, vcc, s6, v2
	v_addc_co_u32_e32 v3, vcc, v3, v10, vcc
	global_load_dword v11, v[2:3], off
	global_load_dword v12, v[15:16], off offset:936
	v_add_co_u32_e32 v2, vcc, s6, v2
	v_addc_co_u32_e32 v3, vcc, v3, v10, vcc
	global_load_dword v13, v[2:3], off
	global_load_dword v14, v[15:16], off offset:1512
	;; [unrolled: 4-line block ×9, first 2 shown]
	v_add_u32_e32 v0, 0x500, v64
	s_waitcnt vmcnt(19)
	v_lshrrev_b32_e32 v1, 16, v8
	s_waitcnt vmcnt(18)
	v_mul_f16_sdwa v2, v9, v8 dst_sel:DWORD dst_unused:UNUSED_PAD src0_sel:WORD_1 src1_sel:DWORD
	v_mul_f16_sdwa v3, v9, v1 dst_sel:DWORD dst_unused:UNUSED_PAD src0_sel:WORD_1 src1_sel:DWORD
	v_fma_f16 v1, v9, v1, -v2
	v_fma_f16 v3, v9, v8, v3
	v_pack_b32_f16 v1, v3, v1
	s_waitcnt vmcnt(17)
	v_lshrrev_b32_e32 v2, 16, v11
	s_waitcnt vmcnt(16)
	v_mul_f16_sdwa v33, v12, v11 dst_sel:DWORD dst_unused:UNUSED_PAD src0_sel:WORD_1 src1_sel:DWORD
	v_mul_f16_sdwa v8, v12, v2 dst_sel:DWORD dst_unused:UNUSED_PAD src0_sel:WORD_1 src1_sel:DWORD
	v_fma_f16 v2, v12, v2, -v33
	v_fma_f16 v3, v12, v11, v8
	s_waitcnt vmcnt(15)
	v_lshrrev_b32_e32 v9, 16, v13
	s_waitcnt vmcnt(14)
	v_mul_f16_sdwa v8, v14, v9 dst_sel:DWORD dst_unused:UNUSED_PAD src0_sel:WORD_1 src1_sel:DWORD
	v_mul_f16_sdwa v33, v14, v13 dst_sel:DWORD dst_unused:UNUSED_PAD src0_sel:WORD_1 src1_sel:DWORD
	v_pack_b32_f16 v2, v3, v2
	v_fma_f16 v3, v14, v13, v8
	s_waitcnt vmcnt(13)
	v_lshrrev_b32_e32 v11, 16, v20
	s_waitcnt vmcnt(12)
	v_mul_f16_sdwa v12, v21, v20 dst_sel:DWORD dst_unused:UNUSED_PAD src0_sel:WORD_1 src1_sel:DWORD
	v_mul_f16_sdwa v8, v21, v11 dst_sel:DWORD dst_unused:UNUSED_PAD src0_sel:WORD_1 src1_sel:DWORD
	v_fma_f16 v9, v14, v9, -v33
	v_fma_f16 v11, v21, v11, -v12
	s_waitcnt vmcnt(11)
	v_lshrrev_b32_e32 v12, 16, v22
	ds_write2_b32 v64, v1, v2 offset0:90 offset1:234
	v_fma_f16 v2, v21, v20, v8
	s_waitcnt vmcnt(10)
	v_mul_f16_sdwa v13, v23, v22 dst_sel:DWORD dst_unused:UNUSED_PAD src0_sel:WORD_1 src1_sel:DWORD
	v_pack_b32_f16 v1, v3, v9
	v_mul_f16_sdwa v3, v23, v12 dst_sel:DWORD dst_unused:UNUSED_PAD src0_sel:WORD_1 src1_sel:DWORD
	v_pack_b32_f16 v2, v2, v11
	v_fma_f16 v3, v23, v22, v3
	ds_write2_b32 v0, v1, v2 offset0:58 offset1:202
	v_fma_f16 v0, v23, v12, -v13
	s_waitcnt vmcnt(9)
	v_lshrrev_b32_e32 v1, 16, v24
	v_pack_b32_f16 v0, v3, v0
	s_waitcnt vmcnt(8)
	v_mul_f16_sdwa v2, v25, v1 dst_sel:DWORD dst_unused:UNUSED_PAD src0_sel:WORD_1 src1_sel:DWORD
	v_mul_f16_sdwa v3, v25, v24 dst_sel:DWORD dst_unused:UNUSED_PAD src0_sel:WORD_1 src1_sel:DWORD
	v_fma_f16 v2, v25, v24, v2
	v_fma_f16 v1, v25, v1, -v3
	v_pack_b32_f16 v1, v2, v1
	v_add_u32_e32 v2, 0xa00, v64
	ds_write2_b32 v2, v0, v1 offset0:26 offset1:170
	s_waitcnt vmcnt(7)
	v_lshrrev_b32_e32 v0, 16, v26
	s_waitcnt vmcnt(6)
	v_mul_f16_sdwa v1, v27, v0 dst_sel:DWORD dst_unused:UNUSED_PAD src0_sel:WORD_1 src1_sel:DWORD
	v_mul_f16_sdwa v2, v27, v26 dst_sel:DWORD dst_unused:UNUSED_PAD src0_sel:WORD_1 src1_sel:DWORD
	v_fma_f16 v1, v27, v26, v1
	v_fma_f16 v0, v27, v0, -v2
	v_pack_b32_f16 v0, v1, v0
	s_waitcnt vmcnt(5)
	v_lshrrev_b32_e32 v1, 16, v28
	s_waitcnt vmcnt(4)
	v_mul_f16_sdwa v2, v29, v1 dst_sel:DWORD dst_unused:UNUSED_PAD src0_sel:WORD_1 src1_sel:DWORD
	v_mul_f16_sdwa v3, v29, v28 dst_sel:DWORD dst_unused:UNUSED_PAD src0_sel:WORD_1 src1_sel:DWORD
	v_fma_f16 v2, v29, v28, v2
	v_fma_f16 v1, v29, v1, -v3
	v_pack_b32_f16 v1, v2, v1
	v_add_u32_e32 v2, 0xe00, v64
	ds_write2_b32 v2, v0, v1 offset0:58 offset1:202
	s_waitcnt vmcnt(3)
	v_lshrrev_b32_e32 v0, 16, v30
	s_waitcnt vmcnt(2)
	v_mul_f16_sdwa v1, v31, v0 dst_sel:DWORD dst_unused:UNUSED_PAD src0_sel:WORD_1 src1_sel:DWORD
	v_mul_f16_sdwa v2, v31, v30 dst_sel:DWORD dst_unused:UNUSED_PAD src0_sel:WORD_1 src1_sel:DWORD
	v_fma_f16 v1, v31, v30, v1
	v_fma_f16 v0, v31, v0, -v2
	v_pack_b32_f16 v0, v1, v0
	s_waitcnt vmcnt(1)
	v_lshrrev_b32_e32 v1, 16, v10
	s_waitcnt vmcnt(0)
	v_mul_f16_sdwa v2, v32, v1 dst_sel:DWORD dst_unused:UNUSED_PAD src0_sel:WORD_1 src1_sel:DWORD
	v_mul_f16_sdwa v3, v32, v10 dst_sel:DWORD dst_unused:UNUSED_PAD src0_sel:WORD_1 src1_sel:DWORD
	v_fma_f16 v2, v32, v10, v2
	v_fma_f16 v1, v32, v1, -v3
	v_pack_b32_f16 v1, v2, v1
	ds_write2_b32 v7, v0, v1 offset0:90 offset1:234
.LBB0_3:
	s_or_b64 exec, exec, s[2:3]
	s_waitcnt lgkmcnt(0)
	s_barrier
	ds_read2_b32 v[24:25], v64 offset1:144
	ds_read2_b32 v[22:23], v4 offset0:32 offset1:176
	ds_read2_b32 v[20:21], v5 offset0:64 offset1:208
	;; [unrolled: 1-line block ×3, first 2 shown]
	ds_read2_b32 v[10:11], v7 offset1:144
	s_load_dwordx2 s[18:19], s[4:5], 0x8
                                        ; implicit-def: $vgpr5
                                        ; implicit-def: $vgpr3
                                        ; implicit-def: $vgpr1
                                        ; implicit-def: $vgpr9
                                        ; implicit-def: $vgpr7
	s_and_saveexec_b64 s[2:3], s[0:1]
	s_cbranch_execz .LBB0_5
; %bb.4:
	v_add_u32_e32 v0, 0x500, v64
	ds_read2_b32 v[8:9], v0 offset0:58 offset1:202
	v_add_u32_e32 v0, 0xa00, v64
	v_add_u32_e32 v2, 0xe00, v64
	;; [unrolled: 1-line block ×3, first 2 shown]
	ds_read2_b32 v[6:7], v64 offset0:90 offset1:234
	ds_read2_b32 v[0:1], v0 offset0:26 offset1:170
	;; [unrolled: 1-line block ×4, first 2 shown]
.LBB0_5:
	s_or_b64 exec, exec, s[2:3]
	s_waitcnt lgkmcnt(0)
	v_add_f16_e32 v14, v20, v12
	v_fma_f16 v14, v14, -0.5, v24
	v_sub_f16_sdwa v26, v22, v10 dst_sel:DWORD dst_unused:UNUSED_PAD src0_sel:WORD_1 src1_sel:WORD_1
	s_movk_i32 s3, 0x3b9c
	s_mov_b32 s5, 0xbb9c
	v_fma_f16 v27, v26, s3, v14
	v_sub_f16_sdwa v28, v20, v12 dst_sel:DWORD dst_unused:UNUSED_PAD src0_sel:WORD_1 src1_sel:WORD_1
	s_movk_i32 s2, 0x38b4
	v_sub_f16_e32 v29, v10, v12
	v_sub_f16_e32 v31, v22, v20
	v_fma_f16 v14, v26, s5, v14
	s_mov_b32 s4, 0xb8b4
	v_fma_f16 v27, v28, s2, v27
	v_add_f16_e32 v29, v31, v29
	s_movk_i32 s6, 0x34f2
	v_fma_f16 v14, v28, s4, v14
	v_fma_f16 v27, v29, s6, v27
	;; [unrolled: 1-line block ×3, first 2 shown]
	v_add_f16_e32 v29, v22, v10
	v_fma_f16 v29, v29, -0.5, v24
	v_fma_f16 v31, v28, s5, v29
	v_fma_f16 v28, v28, s3, v29
	v_pk_add_f16 v30, v24, v22
	v_fma_f16 v31, v26, s2, v31
	v_sub_f16_e32 v32, v12, v10
	v_sub_f16_e32 v33, v20, v22
	v_fma_f16 v26, v26, s4, v28
	v_add_f16_sdwa v28, v20, v12 dst_sel:DWORD dst_unused:UNUSED_PAD src0_sel:WORD_1 src1_sel:WORD_1
	v_lshrrev_b32_e32 v24, 16, v24
	v_add_f16_e32 v32, v33, v32
	v_fma_f16 v28, v28, -0.5, v24
	v_sub_f16_e32 v29, v22, v10
	v_fma_f16 v31, v32, s6, v31
	v_fma_f16 v26, v32, s6, v26
	v_fma_f16 v32, v29, s5, v28
	v_sub_f16_e32 v33, v20, v12
	v_sub_f16_sdwa v34, v22, v20 dst_sel:DWORD dst_unused:UNUSED_PAD src0_sel:WORD_1 src1_sel:WORD_1
	v_sub_f16_sdwa v35, v10, v12 dst_sel:DWORD dst_unused:UNUSED_PAD src0_sel:WORD_1 src1_sel:WORD_1
	v_fma_f16 v28, v29, s3, v28
	v_fma_f16 v32, v33, s4, v32
	v_add_f16_e32 v34, v34, v35
	v_fma_f16 v28, v33, s2, v28
	v_fma_f16 v32, v34, s6, v32
	;; [unrolled: 1-line block ×3, first 2 shown]
	v_add_f16_sdwa v34, v22, v10 dst_sel:DWORD dst_unused:UNUSED_PAD src0_sel:WORD_1 src1_sel:WORD_1
	v_fma_f16 v24, v34, -0.5, v24
	v_fma_f16 v34, v33, s3, v24
	v_fma_f16 v24, v33, s5, v24
	;; [unrolled: 1-line block ×4, first 2 shown]
	v_add_f16_e32 v29, v21, v13
	v_sub_f16_sdwa v22, v20, v22 dst_sel:DWORD dst_unused:UNUSED_PAD src0_sel:WORD_1 src1_sel:WORD_1
	v_sub_f16_sdwa v35, v12, v10 dst_sel:DWORD dst_unused:UNUSED_PAD src0_sel:WORD_1 src1_sel:WORD_1
	v_fma_f16 v29, v29, -0.5, v25
	v_sub_f16_sdwa v33, v23, v11 dst_sel:DWORD dst_unused:UNUSED_PAD src0_sel:WORD_1 src1_sel:WORD_1
	v_add_f16_e32 v22, v22, v35
	v_fma_f16 v35, v33, s3, v29
	v_sub_f16_sdwa v36, v21, v13 dst_sel:DWORD dst_unused:UNUSED_PAD src0_sel:WORD_1 src1_sel:WORD_1
	v_sub_f16_e32 v37, v11, v13
	v_sub_f16_e32 v38, v23, v21
	v_fma_f16 v29, v33, s5, v29
	v_fma_f16 v35, v36, s2, v35
	v_add_f16_e32 v37, v38, v37
	v_fma_f16 v29, v36, s4, v29
	v_fma_f16 v35, v37, s6, v35
	;; [unrolled: 1-line block ×3, first 2 shown]
	v_add_f16_e32 v37, v23, v11
	v_fma_f16 v37, v37, -0.5, v25
	v_fma_f16 v38, v36, s5, v37
	v_fma_f16 v36, v36, s3, v37
	;; [unrolled: 1-line block ×4, first 2 shown]
	v_pk_add_f16 v24, v25, v23
	v_fma_f16 v38, v33, s2, v38
	v_sub_f16_e32 v39, v13, v11
	v_sub_f16_e32 v40, v21, v23
	v_fma_f16 v33, v33, s4, v36
	v_add_f16_sdwa v36, v21, v13 dst_sel:DWORD dst_unused:UNUSED_PAD src0_sel:WORD_1 src1_sel:WORD_1
	v_lshrrev_b32_e32 v25, 16, v25
	v_add_f16_e32 v39, v40, v39
	v_fma_f16 v36, v36, -0.5, v25
	v_sub_f16_e32 v37, v23, v11
	v_fma_f16 v38, v39, s6, v38
	v_fma_f16 v33, v39, s6, v33
	v_fma_f16 v39, v37, s5, v36
	v_sub_f16_e32 v40, v21, v13
	v_sub_f16_sdwa v41, v23, v21 dst_sel:DWORD dst_unused:UNUSED_PAD src0_sel:WORD_1 src1_sel:WORD_1
	v_sub_f16_sdwa v42, v11, v13 dst_sel:DWORD dst_unused:UNUSED_PAD src0_sel:WORD_1 src1_sel:WORD_1
	v_fma_f16 v36, v37, s3, v36
	v_fma_f16 v39, v40, s4, v39
	v_add_f16_e32 v41, v41, v42
	v_fma_f16 v36, v40, s2, v36
	v_fma_f16 v39, v41, s6, v39
	v_fma_f16 v36, v41, s6, v36
	v_add_f16_sdwa v41, v23, v11 dst_sel:DWORD dst_unused:UNUSED_PAD src0_sel:WORD_1 src1_sel:WORD_1
	v_fma_f16 v25, v41, -0.5, v25
	v_fma_f16 v41, v40, s3, v25
	v_sub_f16_sdwa v23, v21, v23 dst_sel:DWORD dst_unused:UNUSED_PAD src0_sel:WORD_1 src1_sel:WORD_1
	v_sub_f16_sdwa v42, v13, v11 dst_sel:DWORD dst_unused:UNUSED_PAD src0_sel:WORD_1 src1_sel:WORD_1
	v_fma_f16 v25, v40, s5, v25
	v_fma_f16 v41, v37, s4, v41
	v_add_f16_e32 v23, v23, v42
	v_fma_f16 v25, v37, s2, v25
	v_fma_f16 v41, v23, s6, v41
	v_fma_f16 v23, v23, s6, v25
	v_mul_f16_e32 v43, 0x34f2, v33
	v_mul_f16_e32 v45, 0x3a79, v29
	;; [unrolled: 1-line block ×3, first 2 shown]
	v_fma_f16 v43, v23, s3, -v43
	v_fma_f16 v45, v36, s2, -v45
	v_mul_f16_e32 v23, 0x34f2, v23
	v_fma_f16 v25, v39, s2, v25
	v_add_f16_e32 v46, v14, v45
	v_fma_f16 v23, v33, s5, -v23
	v_sub_f16_e32 v45, v14, v45
	v_add_f16_e32 v14, v2, v0
	v_add_f16_e32 v37, v27, v25
	;; [unrolled: 1-line block ×3, first 2 shown]
	v_sub_f16_e32 v47, v27, v25
	v_sub_f16_e32 v48, v22, v23
	v_fma_f16 v22, v14, -0.5, v6
	v_sub_f16_sdwa v25, v8, v4 dst_sel:DWORD dst_unused:UNUSED_PAD src0_sel:WORD_1 src1_sel:WORD_1
	v_add_f16_e32 v44, v26, v43
	v_sub_f16_e32 v43, v26, v43
	v_fma_f16 v14, v25, s3, v22
	v_sub_f16_sdwa v26, v0, v2 dst_sel:DWORD dst_unused:UNUSED_PAD src0_sel:WORD_1 src1_sel:WORD_1
	v_sub_f16_e32 v23, v8, v0
	v_sub_f16_e32 v27, v4, v2
	v_fma_f16 v22, v25, s5, v22
	v_fma_f16 v14, v26, s2, v14
	v_add_f16_e32 v23, v27, v23
	v_fma_f16 v22, v26, s4, v22
	v_mul_f16_e32 v36, 0x3a79, v36
	v_fma_f16 v14, v23, s6, v14
	v_fma_f16 v22, v23, s6, v22
	v_add_f16_e32 v23, v4, v8
	v_fma_f16 v29, v29, s4, -v36
	v_fma_f16 v27, v23, -0.5, v6
	v_add_f16_e32 v36, v28, v29
	v_sub_f16_e32 v49, v28, v29
	v_fma_f16 v23, v26, s5, v27
	v_sub_f16_e32 v28, v0, v8
	v_sub_f16_e32 v29, v2, v4
	v_fma_f16 v26, v26, s3, v27
	v_mul_f16_e32 v40, 0x3b9c, v41
	v_fma_f16 v23, v25, s2, v23
	v_add_f16_e32 v28, v29, v28
	v_fma_f16 v25, v25, s4, v26
	s_movk_i32 s7, 0x3a79
	v_fma_f16 v40, v38, s6, v40
	v_mul_f16_e32 v35, 0xb8b4, v35
	v_fma_f16 v23, v28, s6, v23
	v_fma_f16 v25, v28, s6, v25
	v_add_f16_sdwa v26, v2, v0 dst_sel:DWORD dst_unused:UNUSED_PAD src0_sel:WORD_1 src1_sel:WORD_1
	v_lshrrev_b32_e32 v28, 16, v6
	v_add_f16_e32 v42, v31, v40
	v_fma_f16 v35, v39, s7, v35
	v_sub_f16_e32 v40, v31, v40
	v_fma_f16 v27, v26, -0.5, v28
	v_sub_f16_sdwa v26, v8, v0 dst_sel:DWORD dst_unused:UNUSED_PAD src0_sel:WORD_1 src1_sel:WORD_1
	v_sub_f16_sdwa v29, v4, v2 dst_sel:DWORD dst_unused:UNUSED_PAD src0_sel:WORD_1 src1_sel:WORD_1
	v_sub_f16_e32 v31, v8, v4
	v_add_f16_e32 v39, v32, v35
	v_sub_f16_e32 v35, v32, v35
	v_add_f16_e32 v29, v29, v26
	v_fma_f16 v26, v31, s5, v27
	v_sub_f16_e32 v32, v0, v2
	v_fma_f16 v27, v31, s3, v27
	v_mul_f16_e32 v38, 0xbb9c, v38
	v_fma_f16 v26, v32, s4, v26
	v_fma_f16 v27, v32, s2, v27
	;; [unrolled: 1-line block ×5, first 2 shown]
	v_add_f16_sdwa v29, v4, v8 dst_sel:DWORD dst_unused:UNUSED_PAD src0_sel:WORD_1 src1_sel:WORD_1
	v_add_f16_e32 v41, v34, v38
	v_sub_f16_e32 v38, v34, v38
	v_fma_f16 v28, v29, -0.5, v28
	v_sub_f16_sdwa v29, v0, v8 dst_sel:DWORD dst_unused:UNUSED_PAD src0_sel:WORD_1 src1_sel:WORD_1
	v_sub_f16_sdwa v34, v2, v4 dst_sel:DWORD dst_unused:UNUSED_PAD src0_sel:WORD_1 src1_sel:WORD_1
	v_add_f16_e32 v29, v34, v29
	v_fma_f16 v34, v32, s3, v28
	v_fma_f16 v28, v32, s5, v28
	v_pk_add_f16 v20, v30, v20
	v_pk_add_f16 v21, v24, v21
	v_add_f16_e32 v24, v3, v1
	v_fma_f16 v32, v31, s4, v34
	v_fma_f16 v31, v31, s2, v28
	v_fma_f16 v24, v24, -0.5, v7
	v_sub_f16_sdwa v30, v9, v5 dst_sel:DWORD dst_unused:UNUSED_PAD src0_sel:WORD_1 src1_sel:WORD_1
	v_pk_add_f16 v12, v20, v12
	v_pk_add_f16 v13, v21, v13
	v_sub_f16_e32 v20, v9, v1
	v_sub_f16_e32 v21, v5, v3
	v_fma_f16 v28, v29, s6, v32
	v_fma_f16 v29, v29, s6, v31
	v_add_f16_e32 v20, v21, v20
	v_fma_f16 v21, v30, s3, v24
	v_sub_f16_sdwa v31, v1, v3 dst_sel:DWORD dst_unused:UNUSED_PAD src0_sel:WORD_1 src1_sel:WORD_1
	v_fma_f16 v24, v30, s5, v24
	v_fma_f16 v21, v31, s2, v21
	;; [unrolled: 1-line block ×5, first 2 shown]
	v_sub_f16_e32 v24, v1, v9
	v_sub_f16_e32 v32, v3, v5
	v_add_f16_e32 v24, v32, v24
	v_add_f16_e32 v32, v5, v9
	v_fma_f16 v32, v32, -0.5, v7
	v_fma_f16 v34, v31, s5, v32
	v_fma_f16 v31, v31, s3, v32
	;; [unrolled: 1-line block ×6, first 2 shown]
	v_pk_add_f16 v50, v12, v10
	v_pk_add_f16 v51, v13, v11
	v_add_f16_sdwa v10, v3, v1 dst_sel:DWORD dst_unused:UNUSED_PAD src0_sel:WORD_1 src1_sel:WORD_1
	v_lshrrev_b32_e32 v24, 16, v7
	v_mul_lo_u16_e32 v12, 10, v17
	v_fma_f16 v30, v10, -0.5, v24
	v_pack_b32_f16 v11, v44, v33
	v_pack_b32_f16 v10, v42, v41
	v_sub_f16_e32 v33, v9, v5
	v_lshlrev_b32_e32 v77, 2, v12
	v_pack_b32_f16 v13, v37, v39
	v_pk_add_f16 v12, v50, v51
	s_barrier
	ds_write2_b64 v77, v[12:13], v[10:11] offset1:1
	v_fma_f16 v10, v33, s5, v30
	v_sub_f16_e32 v11, v1, v3
	v_sub_f16_sdwa v12, v9, v1 dst_sel:DWORD dst_unused:UNUSED_PAD src0_sel:WORD_1 src1_sel:WORD_1
	v_sub_f16_sdwa v13, v5, v3 dst_sel:DWORD dst_unused:UNUSED_PAD src0_sel:WORD_1 src1_sel:WORD_1
	v_fma_f16 v10, v11, s4, v10
	v_add_f16_e32 v12, v13, v12
	v_fma_f16 v13, v12, s6, v10
	v_fma_f16 v10, v33, s3, v30
	;; [unrolled: 1-line block ×4, first 2 shown]
	v_add_f16_sdwa v10, v5, v9 dst_sel:DWORD dst_unused:UNUSED_PAD src0_sel:WORD_1 src1_sel:WORD_1
	v_fma_f16 v10, v10, -0.5, v24
	v_sub_f16_sdwa v12, v1, v9 dst_sel:DWORD dst_unused:UNUSED_PAD src0_sel:WORD_1 src1_sel:WORD_1
	v_sub_f16_sdwa v24, v3, v5 dst_sel:DWORD dst_unused:UNUSED_PAD src0_sel:WORD_1 src1_sel:WORD_1
	v_add_f16_e32 v12, v24, v12
	v_fma_f16 v24, v11, s3, v10
	v_fma_f16 v10, v11, s5, v10
	;; [unrolled: 1-line block ×6, first 2 shown]
	v_mul_f16_e32 v10, 0x38b4, v13
	v_mul_f16_e32 v11, 0xb8b4, v21
	v_fma_f16 v10, v21, s7, v10
	v_fma_f16 v12, v13, s7, v11
	v_mul_f16_e32 v13, 0xbb9c, v31
	v_mul_f16_e32 v21, 0x34f2, v33
	;; [unrolled: 1-line block ×3, first 2 shown]
	v_fma_f16 v30, v30, s6, v13
	v_mul_f16_e32 v13, 0x34f2, v32
	v_fma_f16 v32, v32, s5, -v21
	v_mul_f16_e32 v21, 0x3a79, v20
	v_fma_f16 v11, v31, s6, v11
	v_fma_f16 v31, v34, s2, -v21
	v_mul_f16_e32 v21, 0x3a79, v34
	v_add_co_u32_e32 v62, vcc, 0x5a, v17
	v_fma_f16 v13, v33, s3, -v13
	v_fma_f16 v33, v20, s4, -v21
	v_pack_b32_f16 v34, v47, v35
	v_pack_b32_f16 v35, v40, v38
	v_pk_add_f16 v37, v50, v51 neg_lo:[0,1] neg_hi:[0,1]
	v_pack_b32_f16 v36, v46, v36
	v_addc_co_u32_e64 v24, s[8:9], 0, 0, vcc
	v_sub_f16_e32 v54, v14, v10
	v_sub_f16_e32 v55, v23, v11
	v_sub_f16_e32 v20, v25, v13
	v_sub_f16_e32 v21, v22, v31
	v_sub_f16_e32 v56, v26, v12
	ds_write2_b64 v77, v[36:37], v[34:35] offset0:2 offset1:3
	v_sub_f16_e32 v57, v28, v30
	v_sub_f16_e32 v78, v29, v32
	;; [unrolled: 1-line block ×3, first 2 shown]
	v_pack_b32_f16 v35, v45, v49
	v_pack_b32_f16 v34, v43, v48
	v_mul_u32_u24_e32 v76, 10, v62
	ds_write_b64 v77, v[34:35] offset:32
	s_and_saveexec_b64 s[2:3], s[0:1]
	s_cbranch_execz .LBB0_7
; %bb.6:
	v_pk_add_f16 v6, v8, v6
	v_pk_add_f16 v0, v0, v6
	;; [unrolled: 1-line block ×7, first 2 shown]
	v_add_f16_e32 v8, v27, v33
	v_add_f16_e32 v9, v29, v32
	;; [unrolled: 1-line block ×7, first 2 shown]
	v_pk_add_f16 v5, v5, v0
	v_add_f16_e32 v22, v22, v31
	v_lshlrev_b32_e32 v14, 2, v76
	v_pk_add_f16 v0, v5, v4
	v_pack_b32_f16 v3, v13, v9
	v_pack_b32_f16 v2, v11, v27
	;; [unrolled: 1-line block ×3, first 2 shown]
	s_mov_b32 s4, 0x5040100
	ds_write2_b64 v14, v[0:1], v[2:3] offset1:1
	v_pk_add_f16 v1, v4, v5 neg_lo:[0,1] neg_hi:[0,1]
	v_perm_b32 v3, v57, v55, s4
	v_perm_b32 v2, v56, v54, s4
	v_pack_b32_f16 v0, v22, v8
	ds_write2_b64 v14, v[0:1], v[2:3] offset0:2 offset1:3
	v_perm_b32 v1, v79, v21, s4
	v_perm_b32 v0, v78, v20, s4
	ds_write_b64 v14, v[0:1] offset:32
.LBB0_7:
	s_or_b64 exec, exec, s[2:3]
	s_movk_i32 s2, 0xcd
	v_mul_lo_u16_sdwa v0, v17, s2 dst_sel:DWORD dst_unused:UNUSED_PAD src0_sel:BYTE_0 src1_sel:DWORD
	v_lshrrev_b16_e32 v39, 11, v0
	v_mul_lo_u16_e32 v0, 10, v39
	v_sub_u16_e32 v0, v17, v0
	v_and_b32_e32 v40, 0xff, v0
	v_mad_u64_u32 v[22:23], s[2:3], v40, 60, s[18:19]
	s_waitcnt lgkmcnt(0)
	s_barrier
	global_load_dwordx4 v[0:3], v[22:23], off
	global_load_dwordx4 v[4:7], v[22:23], off offset:16
	global_load_dwordx4 v[8:11], v[22:23], off offset:32
	global_load_dwordx3 v[12:14], v[22:23], off offset:48
	v_add_u32_e32 v41, 0x200, v64
	v_add_u32_e32 v33, 0xc00, v64
	;; [unrolled: 1-line block ×3, first 2 shown]
	ds_read2_b32 v[22:23], v64 offset1:90
	v_add_u32_e32 v42, 0x400, v64
	v_add_u32_e32 v43, 0x800, v64
	;; [unrolled: 1-line block ×4, first 2 shown]
	ds_read2_b32 v[25:26], v41 offset0:52 offset1:142
	ds_read2_b32 v[27:28], v42 offset0:104 offset1:194
	;; [unrolled: 1-line block ×7, first 2 shown]
	s_waitcnt lgkmcnt(6)
	v_lshrrev_b32_e32 v48, 16, v25
	s_waitcnt lgkmcnt(5)
	v_lshrrev_b32_e32 v50, 16, v27
	;; [unrolled: 2-line block ×4, first 2 shown]
	v_lshrrev_b32_e32 v81, 16, v36
	s_waitcnt lgkmcnt(0)
	v_lshrrev_b32_e32 v82, 16, v37
	v_lshrrev_b32_e32 v83, 16, v38
	;; [unrolled: 1-line block ×11, first 2 shown]
	s_mov_b32 s2, 0xb9a8
	s_movk_i32 s3, 0x39a8
	s_mov_b32 s4, 0xbb64
	s_movk_i32 s6, 0x361f
	;; [unrolled: 2-line block ×3, first 2 shown]
	v_mul_u32_u24_e32 v39, 0xa0, v39
	v_or_b32_e32 v39, v39, v40
	s_waitcnt vmcnt(0)
	s_barrier
	v_mul_f16_sdwa v84, v48, v1 dst_sel:DWORD dst_unused:UNUSED_PAD src0_sel:DWORD src1_sel:WORD_1
	v_mul_f16_sdwa v85, v25, v1 dst_sel:DWORD dst_unused:UNUSED_PAD src0_sel:DWORD src1_sel:WORD_1
	;; [unrolled: 1-line block ×3, first 2 shown]
	v_fma_f16 v25, v25, v1, -v84
	v_fma_f16 v84, v35, v11, -v106
	v_mul_f16_sdwa v35, v35, v11 dst_sel:DWORD dst_unused:UNUSED_PAD src0_sel:DWORD src1_sel:WORD_1
	v_fma_f16 v35, v80, v11, v35
	v_mul_f16_sdwa v80, v81, v12 dst_sel:DWORD dst_unused:UNUSED_PAD src0_sel:DWORD src1_sel:WORD_1
	v_fma_f16 v80, v36, v12, -v80
	v_mul_f16_sdwa v36, v36, v12 dst_sel:DWORD dst_unused:UNUSED_PAD src0_sel:DWORD src1_sel:WORD_1
	v_fma_f16 v36, v81, v12, v36
	v_mul_f16_sdwa v81, v82, v13 dst_sel:DWORD dst_unused:UNUSED_PAD src0_sel:DWORD src1_sel:WORD_1
	v_fma_f16 v81, v37, v13, -v81
	v_mul_f16_sdwa v37, v37, v13 dst_sel:DWORD dst_unused:UNUSED_PAD src0_sel:DWORD src1_sel:WORD_1
	v_mul_f16_sdwa v88, v50, v3 dst_sel:DWORD dst_unused:UNUSED_PAD src0_sel:DWORD src1_sel:WORD_1
	v_mul_f16_sdwa v92, v52, v5 dst_sel:DWORD dst_unused:UNUSED_PAD src0_sel:DWORD src1_sel:WORD_1
	v_mul_f16_sdwa v97, v31, v7 dst_sel:DWORD dst_unused:UNUSED_PAD src0_sel:DWORD src1_sel:WORD_1
	v_mul_f16_sdwa v101, v33, v9 dst_sel:DWORD dst_unused:UNUSED_PAD src0_sel:DWORD src1_sel:WORD_1
	v_fma_f16 v37, v82, v13, v37
	v_mul_f16_sdwa v82, v83, v14 dst_sel:DWORD dst_unused:UNUSED_PAD src0_sel:DWORD src1_sel:WORD_1
	v_mul_f16_sdwa v89, v27, v3 dst_sel:DWORD dst_unused:UNUSED_PAD src0_sel:DWORD src1_sel:WORD_1
	;; [unrolled: 1-line block ×5, first 2 shown]
	v_fma_f16 v27, v27, v3, -v88
	v_fma_f16 v29, v29, v5, -v92
	v_fma_f16 v48, v48, v1, v85
	v_fma_f16 v58, v58, v7, v97
	;; [unrolled: 1-line block ×3, first 2 shown]
	v_fma_f16 v82, v38, v14, -v82
	v_mul_f16_sdwa v38, v38, v14 dst_sel:DWORD dst_unused:UNUSED_PAD src0_sel:DWORD src1_sel:WORD_1
	v_mul_f16_sdwa v87, v26, v2 dst_sel:DWORD dst_unused:UNUSED_PAD src0_sel:DWORD src1_sel:WORD_1
	;; [unrolled: 1-line block ×7, first 2 shown]
	v_fma_f16 v31, v31, v7, -v96
	v_fma_f16 v33, v33, v9, -v100
	v_fma_f16 v50, v50, v3, v89
	v_fma_f16 v52, v52, v5, v93
	;; [unrolled: 1-line block ×3, first 2 shown]
	v_sub_f16_e32 v58, v44, v58
	v_sub_f16_e32 v83, v27, v84
	;; [unrolled: 1-line block ×4, first 2 shown]
	v_mul_f16_sdwa v86, v49, v2 dst_sel:DWORD dst_unused:UNUSED_PAD src0_sel:DWORD src1_sel:WORD_1
	v_mul_f16_sdwa v91, v28, v4 dst_sel:DWORD dst_unused:UNUSED_PAD src0_sel:DWORD src1_sel:WORD_1
	v_mul_f16_sdwa v95, v30, v6 dst_sel:DWORD dst_unused:UNUSED_PAD src0_sel:DWORD src1_sel:WORD_1
	v_mul_f16_sdwa v98, v59, v8 dst_sel:DWORD dst_unused:UNUSED_PAD src0_sel:DWORD src1_sel:WORD_1
	v_mul_f16_sdwa v102, v63, v10 dst_sel:DWORD dst_unused:UNUSED_PAD src0_sel:DWORD src1_sel:WORD_1
	v_mul_f16_sdwa v105, v45, v0 dst_sel:DWORD dst_unused:UNUSED_PAD src0_sel:DWORD src1_sel:WORD_1
	v_fma_f16 v28, v28, v4, -v90
	v_fma_f16 v30, v30, v6, -v94
	v_fma_f16 v49, v49, v2, v87
	v_fma_f16 v59, v59, v8, v99
	;; [unrolled: 1-line block ×4, first 2 shown]
	v_sub_f16_e32 v31, v22, v31
	v_sub_f16_e32 v35, v50, v35
	v_fma_f16 v27, v27, 2.0, -v83
	v_sub_f16_e32 v33, v25, v33
	v_sub_f16_e32 v37, v52, v37
	v_fma_f16 v29, v29, 2.0, -v81
	v_add_f16_e32 v83, v58, v83
	v_add_f16_e32 v81, v60, v81
	v_fma_f16 v26, v26, v2, -v86
	v_fma_f16 v32, v32, v8, -v98
	;; [unrolled: 1-line block ×3, first 2 shown]
	v_fma_f16 v51, v51, v4, v91
	v_fma_f16 v53, v53, v6, v95
	v_fma_f16 v23, v23, v0, -v105
	v_fma_f16 v44, v44, 2.0, -v58
	v_fma_f16 v50, v50, 2.0, -v35
	;; [unrolled: 1-line block ×4, first 2 shown]
	v_sub_f16_e32 v59, v45, v59
	v_sub_f16_e32 v80, v28, v80
	;; [unrolled: 1-line block ×5, first 2 shown]
	v_fma_f16 v58, v58, 2.0, -v83
	v_sub_f16_e32 v37, v33, v37
	v_fma_f16 v60, v60, 2.0, -v81
	v_fma_f16 v22, v22, 2.0, -v31
	;; [unrolled: 1-line block ×3, first 2 shown]
	v_sub_f16_e32 v32, v23, v32
	v_sub_f16_e32 v36, v51, v36
	v_fma_f16 v28, v28, 2.0, -v80
	v_sub_f16_e32 v34, v26, v34
	v_sub_f16_e32 v38, v53, v38
	v_fma_f16 v30, v30, 2.0, -v82
	v_fma_f16 v31, v31, 2.0, -v35
	;; [unrolled: 1-line block ×3, first 2 shown]
	v_add_f16_e32 v80, v59, v80
	v_add_f16_e32 v82, v63, v82
	v_fma_f16 v85, v60, s2, v58
	v_fma_f16 v45, v45, 2.0, -v59
	v_fma_f16 v51, v51, 2.0, -v36
	;; [unrolled: 1-line block ×4, first 2 shown]
	v_sub_f16_e32 v36, v32, v36
	v_fma_f16 v59, v59, 2.0, -v80
	v_sub_f16_e32 v38, v34, v38
	v_fma_f16 v63, v63, 2.0, -v82
	v_fma_f16 v84, v33, s2, v31
	v_fma_f16 v33, v33, s3, v85
	;; [unrolled: 1-line block ×3, first 2 shown]
	v_fma_f16 v23, v23, 2.0, -v32
	v_fma_f16 v26, v26, 2.0, -v34
	;; [unrolled: 1-line block ×4, first 2 shown]
	v_fma_f16 v60, v60, s2, v84
	v_fma_f16 v84, v37, s3, v35
	;; [unrolled: 1-line block ×7, first 2 shown]
	v_sub_f16_e32 v27, v22, v27
	v_sub_f16_e32 v50, v44, v50
	;; [unrolled: 1-line block ×8, first 2 shown]
	v_fma_f16 v58, v58, 2.0, -v33
	v_fma_f16 v63, v63, s2, v84
	v_fma_f16 v59, v59, 2.0, -v34
	v_fma_f16 v85, v82, s3, v80
	v_fma_f16 v25, v25, 2.0, -v29
	v_fma_f16 v48, v48, 2.0, -v52
	;; [unrolled: 1-line block ×5, first 2 shown]
	v_sub_f16_e32 v52, v27, v52
	v_add_f16_e32 v29, v50, v29
	v_fma_f16 v32, v32, 2.0, -v63
	v_sub_f16_e32 v53, v28, v53
	v_add_f16_e32 v30, v51, v30
	v_fma_f16 v84, v38, s3, v36
	v_fma_f16 v38, v38, s3, v85
	;; [unrolled: 1-line block ×3, first 2 shown]
	v_fma_f16 v22, v22, 2.0, -v27
	v_fma_f16 v44, v44, 2.0, -v50
	;; [unrolled: 1-line block ×8, first 2 shown]
	v_fma_f16 v82, v82, s2, v84
	v_fma_f16 v84, v32, s4, v31
	;; [unrolled: 1-line block ×3, first 2 shown]
	v_sub_f16_e32 v25, v22, v25
	v_sub_f16_e32 v48, v44, v48
	v_fma_f16 v35, v35, 2.0, -v81
	v_fma_f16 v83, v83, 2.0, -v37
	v_sub_f16_e32 v26, v23, v26
	v_sub_f16_e32 v49, v45, v49
	v_fma_f16 v36, v36, 2.0, -v82
	v_fma_f16 v80, v80, 2.0, -v38
	v_fma_f16 v84, v59, s5, v84
	v_fma_f16 v85, v58, 2.0, -v32
	v_fma_f16 v58, v28, s2, v27
	v_fma_f16 v59, v51, s2, v50
	v_fma_f16 v22, v22, 2.0, -v25
	v_fma_f16 v44, v44, 2.0, -v48
	;; [unrolled: 1-line block ×4, first 2 shown]
	v_fma_f16 v51, v51, s2, v58
	v_fma_f16 v28, v28, s3, v59
	;; [unrolled: 1-line block ×4, first 2 shown]
	v_sub_f16_e32 v23, v22, v23
	v_sub_f16_e32 v45, v44, v45
	v_fma_f16 v86, v80, s4, v58
	v_fma_f16 v36, v36, s7, v59
	;; [unrolled: 1-line block ×4, first 2 shown]
	v_fma_f16 v22, v22, 2.0, -v23
	v_fma_f16 v44, v44, 2.0, -v45
	;; [unrolled: 1-line block ×3, first 2 shown]
	v_fma_f16 v34, v34, s4, v58
	v_fma_f16 v63, v63, s7, v59
	;; [unrolled: 1-line block ×4, first 2 shown]
	v_fma_f16 v27, v27, 2.0, -v51
	v_fma_f16 v50, v50, 2.0, -v28
	;; [unrolled: 1-line block ×4, first 2 shown]
	v_sub_f16_e32 v49, v25, v49
	v_add_f16_e32 v26, v48, v26
	v_fma_f16 v30, v30, s2, v58
	v_fma_f16 v53, v53, s3, v59
	;; [unrolled: 1-line block ×4, first 2 shown]
	v_lshlrev_b32_e32 v80, 2, v39
	v_pack_b32_f16 v22, v22, v44
	v_pack_b32_f16 v31, v31, v85
	v_fma_f16 v25, v25, 2.0, -v49
	v_fma_f16 v48, v48, 2.0, -v26
	;; [unrolled: 1-line block ×4, first 2 shown]
	v_fma_f16 v58, v38, s5, v58
	v_fma_f16 v59, v82, s6, v59
	ds_write2_b32 v80, v22, v31 offset1:10
	v_pack_b32_f16 v22, v27, v50
	v_pack_b32_f16 v27, v35, v83
	v_fma_f16 v52, v52, 2.0, -v30
	v_fma_f16 v29, v29, 2.0, -v53
	;; [unrolled: 1-line block ×4, first 2 shown]
	ds_write2_b32 v80, v22, v27 offset0:20 offset1:30
	v_pack_b32_f16 v22, v25, v48
	v_pack_b32_f16 v25, v60, v33
	ds_write2_b32 v80, v22, v25 offset0:40 offset1:50
	v_pack_b32_f16 v22, v52, v29
	v_pack_b32_f16 v25, v38, v37
	;; [unrolled: 3-line block ×6, first 2 shown]
	ds_write2_b32 v80, v22, v23 offset0:140 offset1:150
	v_add_u32_e32 v22, 0xe00, v64
	s_waitcnt lgkmcnt(0)
	s_barrier
	ds_read2_b32 v[44:45], v64 offset1:90
	ds_read2_b32 v[38:39], v42 offset0:104 offset1:224
	ds_read2_b32 v[52:53], v22 offset0:64 offset1:154
	ds_read2_b32 v[50:51], v43 offset0:58 offset1:148
	ds_read2_b32 v[40:41], v41 offset0:52 offset1:142
	ds_read2_b32 v[48:49], v47 offset0:116 offset1:206
	ds_read2_b32 v[46:47], v46 offset0:110 offset1:200
	ds_read_b32 v60, v64 offset:5280
	v_cmp_gt_u16_e64 s[2:3], 30, v17
	s_and_saveexec_b64 s[4:5], s[2:3]
	s_cbranch_execz .LBB0_9
; %bb.8:
	ds_read_b32 v58, v64 offset:1800
	ds_read_b32 v54, v64 offset:3720
	ds_read_b32 v55, v64 offset:5640
	s_waitcnt lgkmcnt(2)
	v_lshrrev_b32_e32 v59, 16, v58
	s_waitcnt lgkmcnt(1)
	v_lshrrev_b32_e32 v56, 16, v54
	;; [unrolled: 2-line block ×3, first 2 shown]
.LBB0_9:
	s_or_b64 exec, exec, s[4:5]
	v_lshlrev_b64 v[22:23], 3, v[17:18]
	v_add_co_u32_e32 v34, vcc, 0x10e, v17
	s_mov_b64 s[4:5], vcc
	v_mov_b32_e32 v18, s19
	v_add_co_u32_e32 v36, vcc, s18, v22
	v_addc_co_u32_e32 v37, vcc, v18, v23, vcc
	s_movk_i32 s6, 0xffba
	v_add_co_u32_e32 v25, vcc, s6, v17
	v_addc_co_u32_e64 v26, s[6:7], 0, -1, vcc
	s_movk_i32 s6, 0x46
	v_cmp_gt_u16_e32 vcc, s6, v17
	v_cndmask_b32_e32 v82, v26, v24, vcc
	v_cndmask_b32_e32 v81, v25, v62, vcc
	global_load_dwordx2 v[22:23], v[36:37], off offset:600
	v_lshlrev_b64 v[24:25], 3, v[81:82]
	s_mov_b32 s20, 0xcccd
	v_mul_u32_u24_sdwa v26, v34, s20 dst_sel:DWORD dst_unused:UNUSED_PAD src0_sel:WORD_0 src1_sel:DWORD
	v_add_co_u32_e32 v24, vcc, s18, v24
	v_lshrrev_b32_e32 v82, 23, v26
	v_addc_co_u32_e32 v25, vcc, v18, v25, vcc
	global_load_dwordx2 v[24:25], v[24:25], off offset:600
	v_mul_lo_u16_e32 v26, 0xa0, v82
	v_sub_u16_e32 v83, v34, v26
	v_lshlrev_b16_e32 v26, 3, v83
	v_add_co_u32_e32 v30, vcc, s18, v26
	v_addc_co_u32_e32 v31, vcc, 0, v18, vcc
	global_load_dwordx2 v[26:27], v[30:31], off offset:600
	global_load_dwordx2 v[28:29], v[36:37], off offset:760
	v_add_co_u32_e32 v42, vcc, 0x168, v17
	v_mul_u32_u24_sdwa v30, v42, s20 dst_sel:DWORD dst_unused:UNUSED_PAD src0_sel:WORD_0 src1_sel:DWORD
	v_lshrrev_b32_e32 v30, 23, v30
	v_mul_lo_u16_e32 v30, 0xa0, v30
	s_mov_b64 s[6:7], vcc
	v_add_co_u32_e32 v63, vcc, 0x1c2, v17
	v_sub_u16_e32 v88, v42, v30
	v_lshlrev_b16_e32 v30, 3, v88
	v_mul_u32_u24_sdwa v32, v63, s20 dst_sel:DWORD dst_unused:UNUSED_PAD src0_sel:WORD_0 src1_sel:DWORD
	v_add_co_u32_e64 v30, s[8:9], s18, v30
	v_lshrrev_b32_e32 v32, 23, v32
	v_addc_co_u32_e64 v31, s[8:9], 0, v18, s[8:9]
	v_mul_lo_u16_e32 v32, 0xa0, v32
	global_load_dwordx2 v[30:31], v[30:31], off offset:600
	v_sub_u16_e32 v91, v63, v32
	v_lshlrev_b16_e32 v32, 3, v91
	v_add_co_u32_e64 v32, s[8:9], s18, v32
	v_addc_co_u32_e64 v33, s[8:9], 0, v18, s[8:9]
	global_load_dwordx2 v[32:33], v[32:33], off offset:600
	s_waitcnt lgkmcnt(6)
	v_lshrrev_b32_e32 v85, 16, v39
	s_waitcnt lgkmcnt(5)
	v_lshrrev_b32_e32 v86, 16, v52
	s_waitcnt lgkmcnt(4)
	v_lshrrev_b32_e32 v89, 16, v50
	v_lshrrev_b32_e32 v90, 16, v53
	v_lshrrev_b32_e32 v93, 16, v51
	s_waitcnt lgkmcnt(2)
	v_lshrrev_b32_e32 v94, 16, v48
	s_waitcnt lgkmcnt(1)
	v_lshrrev_b32_e32 v96, 16, v46
	v_lshrrev_b32_e32 v97, 16, v49
	;; [unrolled: 1-line block ×3, first 2 shown]
	s_waitcnt lgkmcnt(0)
	v_lshrrev_b32_e32 v100, 16, v60
	v_addc_co_u32_e64 v35, s[4:5], 0, 0, s[4:5]
	v_addc_co_u32_e64 v43, s[4:5], 0, 0, s[6:7]
	v_addc_co_u32_e64 v84, s[4:5], 0, 0, vcc
	v_lshrrev_b32_e32 v18, 16, v44
	s_movk_i32 s4, 0x3aee
	s_mov_b32 s5, 0xbaee
	v_lshrrev_b32_e32 v87, 16, v45
	v_lshrrev_b32_e32 v92, 16, v40
	;; [unrolled: 1-line block ×4, first 2 shown]
	s_waitcnt vmcnt(0)
	s_barrier
	v_mul_f16_sdwa v101, v85, v22 dst_sel:DWORD dst_unused:UNUSED_PAD src0_sel:DWORD src1_sel:WORD_1
	v_fma_f16 v101, v39, v22, -v101
	v_mul_f16_sdwa v39, v39, v22 dst_sel:DWORD dst_unused:UNUSED_PAD src0_sel:DWORD src1_sel:WORD_1
	v_fma_f16 v39, v85, v22, v39
	v_mul_f16_sdwa v85, v86, v23 dst_sel:DWORD dst_unused:UNUSED_PAD src0_sel:DWORD src1_sel:WORD_1
	v_fma_f16 v85, v52, v23, -v85
	v_mul_f16_sdwa v52, v52, v23 dst_sel:DWORD dst_unused:UNUSED_PAD src0_sel:DWORD src1_sel:WORD_1
	v_fma_f16 v52, v86, v23, v52
	v_add_f16_e32 v102, v101, v85
	v_mul_f16_sdwa v86, v89, v24 dst_sel:DWORD dst_unused:UNUSED_PAD src0_sel:DWORD src1_sel:WORD_1
	v_fma_f16 v86, v50, v24, -v86
	v_mul_f16_sdwa v50, v50, v24 dst_sel:DWORD dst_unused:UNUSED_PAD src0_sel:DWORD src1_sel:WORD_1
	v_fma_f16 v50, v89, v24, v50
	v_mul_f16_sdwa v89, v90, v25 dst_sel:DWORD dst_unused:UNUSED_PAD src0_sel:DWORD src1_sel:WORD_1
	v_fma_f16 v89, v53, v25, -v89
	v_mul_f16_sdwa v53, v53, v25 dst_sel:DWORD dst_unused:UNUSED_PAD src0_sel:DWORD src1_sel:WORD_1
	v_fma_f16 v53, v90, v25, v53
	;; [unrolled: 4-line block ×10, first 2 shown]
	v_add_f16_e32 v57, v44, v101
	v_fma_f16 v44, v102, -0.5, v44
	v_sub_f16_e32 v102, v39, v52
	v_fma_f16 v103, v102, s4, v44
	v_fma_f16 v44, v102, s5, v44
	v_add_f16_e32 v102, v18, v39
	v_add_f16_e32 v39, v39, v52
	;; [unrolled: 1-line block ×3, first 2 shown]
	v_fma_f16 v18, v39, -0.5, v18
	v_sub_f16_e32 v39, v101, v85
	v_add_f16_e32 v85, v86, v89
	v_add_f16_e32 v102, v102, v52
	v_fma_f16 v52, v39, s5, v18
	v_fma_f16 v18, v39, s4, v18
	v_add_f16_e32 v39, v45, v86
	v_fma_f16 v45, v85, -0.5, v45
	v_sub_f16_e32 v85, v50, v53
	v_fma_f16 v101, v85, s4, v45
	v_fma_f16 v45, v85, s5, v45
	v_add_f16_e32 v85, v87, v50
	v_add_f16_e32 v50, v50, v53
	;; [unrolled: 1-line block ×3, first 2 shown]
	v_fma_f16 v50, v50, -0.5, v87
	v_sub_f16_e32 v53, v86, v89
	v_add_f16_e32 v85, v90, v93
	v_fma_f16 v105, v53, s5, v50
	v_fma_f16 v50, v53, s4, v50
	v_add_f16_e32 v53, v40, v90
	v_fma_f16 v40, v85, -0.5, v40
	v_sub_f16_e32 v85, v51, v48
	v_fma_f16 v106, v85, s4, v40
	v_fma_f16 v40, v85, s5, v40
	v_add_f16_e32 v85, v92, v51
	v_add_f16_e32 v107, v85, v48
	;; [unrolled: 1-line block ×3, first 2 shown]
	v_fma_f16 v48, v48, -0.5, v92
	v_sub_f16_e32 v51, v90, v93
	v_fma_f16 v92, v51, s5, v48
	v_fma_f16 v51, v51, s4, v48
	v_add_f16_e32 v48, v41, v94
	v_add_f16_e32 v53, v53, v93
	;; [unrolled: 1-line block ×4, first 2 shown]
	v_fma_f16 v41, v48, -0.5, v41
	v_sub_f16_e32 v48, v46, v49
	v_fma_f16 v108, v48, s4, v41
	v_fma_f16 v41, v48, s5, v41
	v_add_f16_e32 v48, v95, v46
	v_add_f16_e32 v46, v46, v49
	v_add_f16_e32 v109, v48, v49
	v_fma_f16 v46, v46, -0.5, v95
	v_sub_f16_e32 v48, v94, v96
	v_fma_f16 v49, v48, s5, v46
	v_fma_f16 v46, v48, s4, v46
	v_add_f16_e32 v48, v38, v97
	v_add_f16_e32 v94, v48, v99
	v_add_f16_e32 v48, v97, v99
	v_fma_f16 v38, v48, -0.5, v38
	v_sub_f16_e32 v48, v47, v60
	v_fma_f16 v95, v48, s4, v38
	v_fma_f16 v38, v48, s5, v38
	v_add_f16_e32 v48, v98, v47
	v_add_f16_e32 v47, v47, v60
	v_add_f16_e32 v96, v48, v60
	v_fma_f16 v47, v47, -0.5, v98
	v_sub_f16_e32 v48, v97, v99
	v_fma_f16 v60, v48, s5, v47
	v_fma_f16 v47, v48, s4, v47
	v_add_f16_e32 v48, v58, v100
	v_add_f16_e32 v39, v39, v89
	v_add_f16_e32 v89, v48, v56
	v_add_f16_e32 v48, v100, v56
	v_fma_f16 v58, v48, -0.5, v58
	v_sub_f16_e32 v85, v54, v55
	v_fma_f16 v48, v85, s4, v58
	v_fma_f16 v85, v85, s5, v58
	v_add_f16_e32 v58, v59, v54
	v_add_f16_e32 v54, v54, v55
	;; [unrolled: 1-line block ×3, first 2 shown]
	v_fma_f16 v54, v54, -0.5, v59
	v_sub_f16_e32 v55, v100, v56
	v_fma_f16 v86, v55, s4, v54
	v_pack_b32_f16 v18, v44, v18
	s_movk_i32 s4, 0x45
	ds_write_b32 v64, v18 offset:1280
	v_mov_b32_e32 v18, 0x1e0
	v_cmp_lt_u16_e32 vcc, s4, v17
	v_cndmask_b32_e32 v18, 0, v18, vcc
	v_fma_f16 v87, v55, s5, v54
	v_pack_b32_f16 v54, v57, v102
	v_pack_b32_f16 v52, v103, v52
	v_add_lshl_u32 v81, v81, v18, 2
	v_pack_b32_f16 v18, v39, v104
	v_pack_b32_f16 v39, v101, v105
	ds_write2_b32 v64, v54, v52 offset1:160
	ds_write2_b32 v81, v18, v39 offset1:160
	v_pack_b32_f16 v18, v45, v50
	ds_write_b32 v81, v18 offset:1280
	v_pack_b32_f16 v18, v53, v107
	v_pack_b32_f16 v39, v106, v92
	v_add_u32_e32 v44, 0x700, v64
	s_movk_i32 s5, 0x1e0
	ds_write2_b32 v44, v18, v39 offset0:52 offset1:212
	v_pack_b32_f16 v18, v40, v51
	ds_write_b32 v64, v18 offset:3280
	v_mad_legacy_u16 v18, v82, s5, v83
	v_lshlrev_b32_e32 v82, 2, v18
	v_pack_b32_f16 v18, v93, v109
	v_pack_b32_f16 v39, v108, v49
	ds_write2_b32 v82, v18, v39 offset1:160
	v_pack_b32_f16 v18, v41, v46
	v_lshlrev_b32_e32 v83, 2, v88
	ds_write_b32 v82, v18 offset:1280
	v_pack_b32_f16 v18, v94, v96
	v_pack_b32_f16 v39, v95, v60
	v_add_u32_e32 v40, 0xe00, v83
	ds_write2_b32 v40, v18, v39 offset0:64 offset1:224
	v_pack_b32_f16 v18, v38, v47
	ds_write_b32 v83, v18 offset:5120
	v_lshlrev_b32_e32 v18, 2, v91
	s_and_saveexec_b64 s[4:5], s[2:3]
	s_cbranch_execz .LBB0_11
; %bb.10:
	s_mov_b32 s6, 0x5040100
	v_perm_b32 v38, v90, v89, s6
	v_perm_b32 v39, v87, v48, s6
	v_add_u32_e32 v40, 0xe00, v18
	ds_write2_b32 v40, v38, v39 offset0:64 offset1:224
	v_perm_b32 v38, v86, v85, s6
	ds_write_b32 v18, v38 offset:5120
.LBB0_11:
	s_or_b64 exec, exec, s[4:5]
	v_add_u32_e32 v38, 0x400, v64
	s_waitcnt lgkmcnt(0)
	s_barrier
	ds_read2_b32 v[49:50], v38 offset0:104 offset1:224
	v_add_u32_e32 v38, 0xe00, v64
	v_add_u32_e32 v92, 0x800, v64
	;; [unrolled: 1-line block ×5, first 2 shown]
	ds_read2_b32 v[51:52], v64 offset1:90
	ds_read2_b32 v[59:60], v38 offset0:64 offset1:154
	ds_read2_b32 v[57:58], v92 offset0:58 offset1:148
	;; [unrolled: 1-line block ×5, first 2 shown]
	ds_read_b32 v88, v64 offset:5280
	s_and_saveexec_b64 s[4:5], s[2:3]
	s_cbranch_execz .LBB0_13
; %bb.12:
	ds_read_b32 v89, v64 offset:1800
	ds_read_b32 v48, v64 offset:3720
	ds_read_b32 v85, v64 offset:5640
	s_waitcnt lgkmcnt(2)
	v_lshrrev_b32_e32 v90, 16, v89
	s_waitcnt lgkmcnt(1)
	v_lshrrev_b32_e32 v87, 16, v48
	;; [unrolled: 2-line block ×3, first 2 shown]
.LBB0_13:
	s_or_b64 exec, exec, s[4:5]
	v_lshlrev_b64 v[34:35], 3, v[34:35]
	v_lshlrev_b32_e32 v38, 3, v62
	v_mov_b32_e32 v40, 0x5a0
	v_mov_b32_e32 v62, s19
	v_lshlrev_b64 v[42:43], 3, v[42:43]
	v_add_co_u32_e32 v34, vcc, s18, v34
	v_lshl_add_u32 v40, v17, 3, v40
	v_addc_co_u32_e32 v35, vcc, v62, v35, vcc
	global_load_dwordx2 v[36:37], v[36:37], off offset:1880
	s_movk_i32 s4, 0xffe2
	global_load_dwordx2 v[44:45], v[34:35], off offset:1880
	v_add_co_u32_e32 v34, vcc, s18, v42
	global_load_dwordx2 v[38:39], v38, s[18:19] offset:1880
	v_addc_co_u32_e32 v35, vcc, v62, v43, vcc
	global_load_dwordx2 v[40:41], v40, s[18:19] offset:1880
	s_waitcnt lgkmcnt(4)
	v_lshrrev_b32_e32 v96, 16, v57
	global_load_dwordx2 v[42:43], v[34:35], off offset:1880
	v_add_co_u32_e32 v34, vcc, s4, v17
	v_addc_co_u32_e64 v35, s[4:5], 0, -1, vcc
	v_cndmask_b32_e64 v35, v35, v84, s[2:3]
	v_cndmask_b32_e64 v34, v34, v63, s[2:3]
	v_lshlrev_b64 v[34:35], 3, v[34:35]
	v_lshrrev_b32_e32 v63, 16, v50
	v_add_co_u32_e32 v34, vcc, s18, v34
	v_addc_co_u32_e32 v35, vcc, v62, v35, vcc
	global_load_dwordx2 v[34:35], v[34:35], off offset:1880
	v_lshrrev_b32_e32 v99, 16, v58
	s_waitcnt lgkmcnt(1)
	v_lshrrev_b32_e32 v102, 16, v55
	s_waitcnt lgkmcnt(0)
	v_lshrrev_b32_e32 v106, 16, v88
	v_lshrrev_b32_e32 v84, 16, v59
	;; [unrolled: 1-line block ×7, first 2 shown]
	s_movk_i32 s4, 0x3aee
	s_mov_b32 s5, 0xbaee
	v_lshrrev_b32_e32 v91, 16, v52
	v_lshrrev_b32_e32 v98, 16, v46
	;; [unrolled: 1-line block ×4, first 2 shown]
	s_waitcnt vmcnt(5)
	v_mul_f16_sdwa v107, v63, v36 dst_sel:DWORD dst_unused:UNUSED_PAD src0_sel:DWORD src1_sel:WORD_1
	v_mul_f16_sdwa v108, v50, v36 dst_sel:DWORD dst_unused:UNUSED_PAD src0_sel:DWORD src1_sel:WORD_1
	v_fma_f16 v50, v50, v36, -v107
	v_fma_f16 v63, v63, v36, v108
	v_mul_f16_sdwa v109, v84, v37 dst_sel:DWORD dst_unused:UNUSED_PAD src0_sel:DWORD src1_sel:WORD_1
	s_waitcnt vmcnt(3)
	v_mul_f16_sdwa v107, v96, v38 dst_sel:DWORD dst_unused:UNUSED_PAD src0_sel:DWORD src1_sel:WORD_1
	v_mul_f16_sdwa v108, v57, v38 dst_sel:DWORD dst_unused:UNUSED_PAD src0_sel:DWORD src1_sel:WORD_1
	v_fma_f16 v57, v57, v38, -v107
	s_waitcnt vmcnt(2)
	v_mul_f16_sdwa v107, v99, v40 dst_sel:DWORD dst_unused:UNUSED_PAD src0_sel:DWORD src1_sel:WORD_1
	v_fma_f16 v96, v96, v38, v108
	v_mul_f16_sdwa v108, v58, v40 dst_sel:DWORD dst_unused:UNUSED_PAD src0_sel:DWORD src1_sel:WORD_1
	v_fma_f16 v58, v58, v40, -v107
	v_mul_f16_sdwa v107, v102, v44 dst_sel:DWORD dst_unused:UNUSED_PAD src0_sel:DWORD src1_sel:WORD_1
	s_waitcnt vmcnt(1)
	v_mul_f16_sdwa v113, v106, v43 dst_sel:DWORD dst_unused:UNUSED_PAD src0_sel:DWORD src1_sel:WORD_1
	v_fma_f16 v99, v99, v40, v108
	v_mul_f16_sdwa v108, v55, v44 dst_sel:DWORD dst_unused:UNUSED_PAD src0_sel:DWORD src1_sel:WORD_1
	v_fma_f16 v55, v55, v44, -v107
	v_fma_f16 v107, v88, v43, -v113
	v_mul_f16_sdwa v88, v88, v43 dst_sel:DWORD dst_unused:UNUSED_PAD src0_sel:DWORD src1_sel:WORD_1
	v_mul_f16_sdwa v110, v59, v37 dst_sel:DWORD dst_unused:UNUSED_PAD src0_sel:DWORD src1_sel:WORD_1
	v_fma_f16 v59, v59, v37, -v109
	v_mul_f16_sdwa v109, v97, v39 dst_sel:DWORD dst_unused:UNUSED_PAD src0_sel:DWORD src1_sel:WORD_1
	v_fma_f16 v88, v106, v43, v88
	s_waitcnt vmcnt(0)
	v_mul_f16_sdwa v106, v87, v34 dst_sel:DWORD dst_unused:UNUSED_PAD src0_sel:DWORD src1_sel:WORD_1
	v_fma_f16 v84, v84, v37, v110
	v_mul_f16_sdwa v110, v60, v39 dst_sel:DWORD dst_unused:UNUSED_PAD src0_sel:DWORD src1_sel:WORD_1
	v_fma_f16 v60, v60, v39, -v109
	v_mul_f16_sdwa v109, v100, v41 dst_sel:DWORD dst_unused:UNUSED_PAD src0_sel:DWORD src1_sel:WORD_1
	v_fma_f16 v106, v48, v34, -v106
	v_mul_f16_sdwa v48, v48, v34 dst_sel:DWORD dst_unused:UNUSED_PAD src0_sel:DWORD src1_sel:WORD_1
	v_fma_f16 v97, v97, v39, v110
	v_mul_f16_sdwa v110, v53, v41 dst_sel:DWORD dst_unused:UNUSED_PAD src0_sel:DWORD src1_sel:WORD_1
	v_fma_f16 v53, v53, v41, -v109
	v_mul_f16_sdwa v109, v103, v45 dst_sel:DWORD dst_unused:UNUSED_PAD src0_sel:DWORD src1_sel:WORD_1
	v_fma_f16 v102, v102, v44, v108
	v_fma_f16 v108, v87, v34, v48
	v_mul_f16_sdwa v48, v86, v35 dst_sel:DWORD dst_unused:UNUSED_PAD src0_sel:DWORD src1_sel:WORD_1
	v_fma_f16 v100, v100, v41, v110
	v_mul_f16_sdwa v110, v54, v45 dst_sel:DWORD dst_unused:UNUSED_PAD src0_sel:DWORD src1_sel:WORD_1
	v_fma_f16 v54, v54, v45, -v109
	v_fma_f16 v109, v85, v35, -v48
	v_mul_f16_sdwa v48, v85, v35 dst_sel:DWORD dst_unused:UNUSED_PAD src0_sel:DWORD src1_sel:WORD_1
	v_mul_f16_sdwa v111, v105, v42 dst_sel:DWORD dst_unused:UNUSED_PAD src0_sel:DWORD src1_sel:WORD_1
	v_fma_f16 v103, v103, v45, v110
	v_fma_f16 v110, v86, v35, v48
	v_add_f16_e32 v48, v51, v50
	v_mul_f16_sdwa v112, v56, v42 dst_sel:DWORD dst_unused:UNUSED_PAD src0_sel:DWORD src1_sel:WORD_1
	v_fma_f16 v56, v56, v42, -v111
	v_add_f16_e32 v111, v48, v59
	v_add_f16_e32 v48, v50, v59
	v_fma_f16 v48, v48, -0.5, v51
	v_sub_f16_e32 v51, v63, v84
	v_fma_f16 v105, v105, v42, v112
	v_fma_f16 v112, v51, s4, v48
	;; [unrolled: 1-line block ×3, first 2 shown]
	v_add_f16_e32 v48, v62, v63
	v_add_f16_e32 v114, v48, v84
	v_add_f16_e32 v48, v63, v84
	v_fma_f16 v48, v48, -0.5, v62
	v_sub_f16_e32 v50, v50, v59
	v_fma_f16 v59, v50, s5, v48
	v_fma_f16 v62, v50, s4, v48
	v_add_f16_e32 v48, v52, v57
	v_add_f16_e32 v63, v48, v60
	v_add_f16_e32 v48, v57, v60
	v_fma_f16 v48, v48, -0.5, v52
	v_sub_f16_e32 v50, v96, v97
	v_fma_f16 v115, v50, s4, v48
	v_fma_f16 v116, v50, s5, v48
	;; [unrolled: 7-line block ×7, first 2 shown]
	v_add_f16_e32 v50, v56, v107
	v_fma_f16 v50, v50, -0.5, v49
	v_sub_f16_e32 v51, v105, v88
	v_add_f16_e32 v48, v49, v56
	v_fma_f16 v49, v51, s4, v50
	v_fma_f16 v50, v51, s5, v50
	v_add_f16_e32 v51, v104, v105
	v_add_f16_e32 v86, v51, v88
	;; [unrolled: 1-line block ×3, first 2 shown]
	v_fma_f16 v51, v51, -0.5, v104
	v_sub_f16_e32 v52, v56, v107
	v_fma_f16 v87, v52, s5, v51
	v_fma_f16 v88, v52, s4, v51
	v_add_f16_e32 v52, v106, v109
	v_fma_f16 v53, v52, -0.5, v89
	v_sub_f16_e32 v54, v108, v110
	v_fma_f16 v52, v54, s4, v53
	v_fma_f16 v53, v54, s5, v53
	v_add_f16_e32 v54, v90, v108
	v_add_f16_e32 v51, v89, v106
	;; [unrolled: 1-line block ×4, first 2 shown]
	v_fma_f16 v54, v54, -0.5, v90
	v_sub_f16_e32 v55, v106, v109
	v_fma_f16 v91, v55, s5, v54
	v_fma_f16 v90, v55, s4, v54
	v_pack_b32_f16 v55, v112, v59
	ds_write_b32 v64, v55 offset:1920
	v_pack_b32_f16 v55, v113, v62
	v_pack_b32_f16 v54, v111, v114
	ds_write_b32 v64, v55 offset:3840
	v_pack_b32_f16 v55, v63, v117
	ds_write2_b32 v64, v54, v55 offset1:90
	v_pack_b32_f16 v54, v115, v57
	v_pack_b32_f16 v55, v116, v60
	v_pack_b32_f16 v56, v97, v58
	ds_write_b32 v64, v55 offset:4200
	v_pack_b32_f16 v55, v96, v119
	ds_write2_b32 v92, v54, v56 offset0:58 offset1:148
	v_pack_b32_f16 v56, v99, v100
	v_add_f16_e32 v48, v48, v107
	v_pack_b32_f16 v54, v118, v98
	ds_write2_b32 v95, v55, v56 offset0:52 offset1:142
	v_pack_b32_f16 v56, v47, v84
	ds_write2_b32 v94, v54, v56 offset0:116 offset1:206
	v_pack_b32_f16 v54, v48, v86
	v_pack_b32_f16 v55, v46, v85
	ds_write_b32 v64, v54 offset:1440
	v_pack_b32_f16 v54, v49, v87
	v_add_f16_e32 v51, v51, v109
	ds_write2_b32 v93, v55, v54 offset0:110 offset1:200
	v_pack_b32_f16 v54, v50, v88
	ds_write_b32 v64, v54 offset:5280
	s_and_saveexec_b64 s[4:5], s[2:3]
	s_cbranch_execz .LBB0_15
; %bb.14:
	s_mov_b32 s6, 0x5040100
	v_perm_b32 v54, v89, v51, s6
	ds_write_b32 v64, v54 offset:1800
	v_perm_b32 v54, v91, v52, s6
	ds_write_b32 v64, v54 offset:3720
	;; [unrolled: 2-line block ×3, first 2 shown]
.LBB0_15:
	s_or_b64 exec, exec, s[4:5]
	s_add_u32 s4, s16, 0x1680
	s_addc_u32 s5, s17, 0
	v_lshlrev_b32_e32 v54, 2, v17
	s_waitcnt lgkmcnt(0)
	s_barrier
	global_load_dword v62, v54, s[4:5]
	global_load_dword v63, v54, s[4:5] offset:576
	global_load_dword v96, v54, s[4:5] offset:1152
	;; [unrolled: 1-line block ×7, first 2 shown]
	global_load_dword v102, v61, s[4:5]
	v_mov_b32_e32 v55, s5
	v_add_co_u32_e32 v54, vcc, s4, v54
	v_addc_co_u32_e32 v55, vcc, 0, v55, vcc
	v_add_co_u32_e32 v56, vcc, 0x1000, v54
	v_addc_co_u32_e32 v57, vcc, 0, v55, vcc
	global_load_dword v103, v[56:57], off offset:1088
	ds_read2_b32 v[60:61], v64 offset1:144
	v_add_u32_e32 v59, 0x400, v64
	v_add_u32_e32 v57, 0x800, v64
	;; [unrolled: 1-line block ×4, first 2 shown]
	s_waitcnt lgkmcnt(0)
	v_lshrrev_b32_e32 v92, 16, v60
	v_lshrrev_b32_e32 v93, 16, v61
	s_movk_i32 s6, 0x1000
	s_waitcnt vmcnt(9)
	v_mul_f16_sdwa v94, v92, v62 dst_sel:DWORD dst_unused:UNUSED_PAD src0_sel:DWORD src1_sel:WORD_1
	v_mul_f16_sdwa v95, v60, v62 dst_sel:DWORD dst_unused:UNUSED_PAD src0_sel:DWORD src1_sel:WORD_1
	s_waitcnt vmcnt(8)
	v_mul_f16_sdwa v104, v93, v63 dst_sel:DWORD dst_unused:UNUSED_PAD src0_sel:DWORD src1_sel:WORD_1
	v_mul_f16_sdwa v105, v61, v63 dst_sel:DWORD dst_unused:UNUSED_PAD src0_sel:DWORD src1_sel:WORD_1
	v_fma_f16 v60, v60, v62, -v94
	v_fma_f16 v62, v92, v62, v95
	v_fma_f16 v61, v61, v63, -v104
	v_fma_f16 v63, v93, v63, v105
	v_pack_b32_f16 v60, v60, v62
	v_pack_b32_f16 v61, v61, v63
	ds_write2_b32 v64, v60, v61 offset1:144
	ds_read2_b32 v[60:61], v59 offset0:32 offset1:176
	ds_read2_b32 v[62:63], v57 offset0:64 offset1:208
	;; [unrolled: 1-line block ×3, first 2 shown]
	ds_read2_b32 v[94:95], v58 offset1:144
	s_waitcnt lgkmcnt(2)
	v_lshrrev_b32_e32 v108, 16, v62
	v_lshrrev_b32_e32 v104, 16, v60
	s_waitcnt vmcnt(7)
	v_mul_f16_sdwa v105, v60, v96 dst_sel:DWORD dst_unused:UNUSED_PAD src0_sel:DWORD src1_sel:WORD_1
	v_lshrrev_b32_e32 v106, 16, v61
	s_waitcnt vmcnt(6)
	v_mul_f16_sdwa v107, v61, v97 dst_sel:DWORD dst_unused:UNUSED_PAD src0_sel:DWORD src1_sel:WORD_1
	s_waitcnt vmcnt(5)
	v_mul_f16_sdwa v109, v62, v98 dst_sel:DWORD dst_unused:UNUSED_PAD src0_sel:DWORD src1_sel:WORD_1
	v_lshrrev_b32_e32 v110, 16, v63
	s_waitcnt vmcnt(4)
	v_mul_f16_sdwa v111, v63, v99 dst_sel:DWORD dst_unused:UNUSED_PAD src0_sel:DWORD src1_sel:WORD_1
	s_waitcnt lgkmcnt(1)
	v_lshrrev_b32_e32 v112, 16, v92
	s_waitcnt vmcnt(3)
	v_mul_f16_sdwa v113, v92, v100 dst_sel:DWORD dst_unused:UNUSED_PAD src0_sel:DWORD src1_sel:WORD_1
	v_lshrrev_b32_e32 v114, 16, v93
	v_mul_f16_sdwa v119, v104, v96 dst_sel:DWORD dst_unused:UNUSED_PAD src0_sel:DWORD src1_sel:WORD_1
	v_fma_f16 v104, v104, v96, v105
	v_mul_f16_sdwa v105, v106, v97 dst_sel:DWORD dst_unused:UNUSED_PAD src0_sel:DWORD src1_sel:WORD_1
	s_waitcnt vmcnt(2)
	v_mul_f16_sdwa v115, v93, v101 dst_sel:DWORD dst_unused:UNUSED_PAD src0_sel:DWORD src1_sel:WORD_1
	v_fma_f16 v106, v106, v97, v107
	v_mul_f16_sdwa v107, v108, v98 dst_sel:DWORD dst_unused:UNUSED_PAD src0_sel:DWORD src1_sel:WORD_1
	v_fma_f16 v108, v108, v98, v109
	;; [unrolled: 2-line block ×4, first 2 shown]
	v_mul_f16_sdwa v113, v114, v101 dst_sel:DWORD dst_unused:UNUSED_PAD src0_sel:DWORD src1_sel:WORD_1
	v_fma_f16 v60, v60, v96, -v119
	v_fma_f16 v61, v61, v97, -v105
	s_waitcnt lgkmcnt(0)
	v_lshrrev_b32_e32 v116, 16, v94
	s_waitcnt vmcnt(1)
	v_mul_f16_sdwa v117, v94, v102 dst_sel:DWORD dst_unused:UNUSED_PAD src0_sel:DWORD src1_sel:WORD_1
	v_lshrrev_b32_e32 v118, 16, v95
	v_fma_f16 v114, v114, v101, v115
	v_fma_f16 v62, v62, v98, -v107
	v_fma_f16 v63, v63, v99, -v109
	;; [unrolled: 1-line block ×4, first 2 shown]
	v_pack_b32_f16 v60, v60, v104
	v_pack_b32_f16 v61, v61, v106
	v_mul_f16_sdwa v115, v116, v102 dst_sel:DWORD dst_unused:UNUSED_PAD src0_sel:DWORD src1_sel:WORD_1
	v_fma_f16 v116, v116, v102, v117
	s_waitcnt vmcnt(0)
	v_mul_f16_sdwa v117, v118, v103 dst_sel:DWORD dst_unused:UNUSED_PAD src0_sel:DWORD src1_sel:WORD_1
	v_pack_b32_f16 v62, v62, v108
	v_pack_b32_f16 v63, v63, v110
	;; [unrolled: 1-line block ×4, first 2 shown]
	ds_write2_b32 v59, v60, v61 offset0:32 offset1:176
	ds_write2_b32 v57, v62, v63 offset0:64 offset1:208
	;; [unrolled: 1-line block ×3, first 2 shown]
	v_mul_f16_sdwa v61, v95, v103 dst_sel:DWORD dst_unused:UNUSED_PAD src0_sel:DWORD src1_sel:WORD_1
	v_fma_f16 v94, v94, v102, -v115
	v_fma_f16 v60, v95, v103, -v117
	v_fma_f16 v61, v118, v103, v61
	v_pack_b32_f16 v94, v94, v116
	v_pack_b32_f16 v60, v60, v61
	ds_write2_b32 v58, v94, v60 offset1:144
	s_and_saveexec_b64 s[4:5], s[0:1]
	s_cbranch_execz .LBB0_17
; %bb.16:
	global_load_dword v63, v[54:55], off offset:360
	ds_read2_b32 v[60:61], v64 offset0:90 offset1:234
	s_waitcnt lgkmcnt(0)
	v_lshrrev_b32_e32 v62, 16, v60
	s_waitcnt vmcnt(0)
	v_mul_f16_sdwa v92, v62, v63 dst_sel:DWORD dst_unused:UNUSED_PAD src0_sel:DWORD src1_sel:WORD_1
	v_fma_f16 v92, v60, v63, -v92
	v_mul_f16_sdwa v60, v60, v63 dst_sel:DWORD dst_unused:UNUSED_PAD src0_sel:DWORD src1_sel:WORD_1
	v_fma_f16 v60, v62, v63, v60
	global_load_dword v63, v[54:55], off offset:936
	v_lshrrev_b32_e32 v62, 16, v61
	v_pack_b32_f16 v60, v92, v60
	s_waitcnt vmcnt(0)
	v_mul_f16_sdwa v92, v62, v63 dst_sel:DWORD dst_unused:UNUSED_PAD src0_sel:DWORD src1_sel:WORD_1
	v_fma_f16 v92, v61, v63, -v92
	v_mul_f16_sdwa v61, v61, v63 dst_sel:DWORD dst_unused:UNUSED_PAD src0_sel:DWORD src1_sel:WORD_1
	v_fma_f16 v61, v62, v63, v61
	v_pack_b32_f16 v61, v92, v61
	global_load_dword v92, v[54:55], off offset:1512
	v_add_u32_e32 v62, 0x500, v64
	ds_write2_b32 v64, v60, v61 offset0:90 offset1:234
	ds_read2_b32 v[60:61], v62 offset0:58 offset1:202
	s_waitcnt lgkmcnt(0)
	v_lshrrev_b32_e32 v63, 16, v60
	s_waitcnt vmcnt(0)
	v_mul_f16_sdwa v93, v63, v92 dst_sel:DWORD dst_unused:UNUSED_PAD src0_sel:DWORD src1_sel:WORD_1
	v_fma_f16 v93, v60, v92, -v93
	v_mul_f16_sdwa v60, v60, v92 dst_sel:DWORD dst_unused:UNUSED_PAD src0_sel:DWORD src1_sel:WORD_1
	v_fma_f16 v60, v63, v92, v60
	global_load_dword v92, v[54:55], off offset:2088
	v_lshrrev_b32_e32 v63, 16, v61
	v_pack_b32_f16 v60, v93, v60
	s_waitcnt vmcnt(0)
	v_mul_f16_sdwa v93, v63, v92 dst_sel:DWORD dst_unused:UNUSED_PAD src0_sel:DWORD src1_sel:WORD_1
	v_fma_f16 v93, v61, v92, -v93
	v_mul_f16_sdwa v61, v61, v92 dst_sel:DWORD dst_unused:UNUSED_PAD src0_sel:DWORD src1_sel:WORD_1
	v_fma_f16 v61, v63, v92, v61
	global_load_dword v92, v[54:55], off offset:2664
	v_pack_b32_f16 v61, v93, v61
	ds_write2_b32 v62, v60, v61 offset0:58 offset1:202
	v_add_u32_e32 v62, 0xa00, v64
	ds_read2_b32 v[60:61], v62 offset0:26 offset1:170
	s_waitcnt lgkmcnt(0)
	v_lshrrev_b32_e32 v63, 16, v60
	s_waitcnt vmcnt(0)
	v_mul_f16_sdwa v93, v63, v92 dst_sel:DWORD dst_unused:UNUSED_PAD src0_sel:DWORD src1_sel:WORD_1
	v_fma_f16 v93, v60, v92, -v93
	v_mul_f16_sdwa v60, v60, v92 dst_sel:DWORD dst_unused:UNUSED_PAD src0_sel:DWORD src1_sel:WORD_1
	v_fma_f16 v60, v63, v92, v60
	global_load_dword v92, v[54:55], off offset:3240
	v_lshrrev_b32_e32 v63, 16, v61
	v_pack_b32_f16 v60, v93, v60
	s_waitcnt vmcnt(0)
	v_mul_f16_sdwa v93, v63, v92 dst_sel:DWORD dst_unused:UNUSED_PAD src0_sel:DWORD src1_sel:WORD_1
	v_fma_f16 v93, v61, v92, -v93
	v_mul_f16_sdwa v61, v61, v92 dst_sel:DWORD dst_unused:UNUSED_PAD src0_sel:DWORD src1_sel:WORD_1
	v_fma_f16 v61, v63, v92, v61
	global_load_dword v92, v[54:55], off offset:3816
	v_pack_b32_f16 v61, v93, v61
	ds_write2_b32 v62, v60, v61 offset0:26 offset1:170
	v_add_u32_e32 v62, 0xe00, v64
	ds_read2_b32 v[60:61], v62 offset0:58 offset1:202
	v_add_co_u32_e32 v54, vcc, s6, v54
	v_addc_co_u32_e32 v55, vcc, 0, v55, vcc
	s_waitcnt lgkmcnt(0)
	v_lshrrev_b32_e32 v63, 16, v60
	s_waitcnt vmcnt(0)
	v_mul_f16_sdwa v93, v63, v92 dst_sel:DWORD dst_unused:UNUSED_PAD src0_sel:DWORD src1_sel:WORD_1
	v_fma_f16 v93, v60, v92, -v93
	v_mul_f16_sdwa v60, v60, v92 dst_sel:DWORD dst_unused:UNUSED_PAD src0_sel:DWORD src1_sel:WORD_1
	v_fma_f16 v60, v63, v92, v60
	global_load_dword v92, v[54:55], off offset:296
	v_lshrrev_b32_e32 v63, 16, v61
	v_pack_b32_f16 v60, v93, v60
	s_waitcnt vmcnt(0)
	v_mul_f16_sdwa v93, v63, v92 dst_sel:DWORD dst_unused:UNUSED_PAD src0_sel:DWORD src1_sel:WORD_1
	v_fma_f16 v93, v61, v92, -v93
	v_mul_f16_sdwa v61, v61, v92 dst_sel:DWORD dst_unused:UNUSED_PAD src0_sel:DWORD src1_sel:WORD_1
	v_fma_f16 v61, v63, v92, v61
	global_load_dword v63, v[54:55], off offset:872
	v_pack_b32_f16 v61, v93, v61
	global_load_dword v54, v[54:55], off offset:1448
	ds_write2_b32 v62, v60, v61 offset0:58 offset1:202
	ds_read2_b32 v[60:61], v58 offset0:90 offset1:234
	s_waitcnt lgkmcnt(0)
	v_lshrrev_b32_e32 v62, 16, v60
	s_waitcnt vmcnt(1)
	v_mul_f16_sdwa v92, v62, v63 dst_sel:DWORD dst_unused:UNUSED_PAD src0_sel:DWORD src1_sel:WORD_1
	v_fma_f16 v92, v60, v63, -v92
	v_mul_f16_sdwa v60, v60, v63 dst_sel:DWORD dst_unused:UNUSED_PAD src0_sel:DWORD src1_sel:WORD_1
	v_fma_f16 v60, v62, v63, v60
	v_lshrrev_b32_e32 v62, 16, v61
	s_waitcnt vmcnt(0)
	v_mul_f16_sdwa v55, v62, v54 dst_sel:DWORD dst_unused:UNUSED_PAD src0_sel:DWORD src1_sel:WORD_1
	v_fma_f16 v55, v61, v54, -v55
	v_mul_f16_sdwa v61, v61, v54 dst_sel:DWORD dst_unused:UNUSED_PAD src0_sel:DWORD src1_sel:WORD_1
	v_fma_f16 v54, v62, v54, v61
	v_pack_b32_f16 v60, v92, v60
	v_pack_b32_f16 v54, v55, v54
	ds_write2_b32 v58, v60, v54 offset0:90 offset1:234
.LBB0_17:
	s_or_b64 exec, exec, s[4:5]
	s_waitcnt lgkmcnt(0)
	s_barrier
	ds_read2_b32 v[62:63], v64 offset1:144
	ds_read2_b32 v[60:61], v59 offset0:32 offset1:176
	ds_read2_b32 v[54:55], v57 offset0:64 offset1:208
	;; [unrolled: 1-line block ×3, first 2 shown]
	ds_read2_b32 v[58:59], v58 offset1:144
	s_and_saveexec_b64 s[4:5], s[0:1]
	s_cbranch_execz .LBB0_19
; %bb.18:
	v_add_u32_e32 v20, 0x500, v64
	ds_read2_b32 v[48:49], v20 offset0:58 offset1:202
	v_add_u32_e32 v20, 0xa00, v64
	ds_read2_b32 v[50:51], v20 offset0:26 offset1:170
	;; [unrolled: 2-line block ×4, first 2 shown]
	ds_read2_b32 v[20:21], v20 offset0:90 offset1:234
	s_waitcnt lgkmcnt(4)
	v_lshrrev_b32_e32 v86, 16, v48
	v_lshrrev_b32_e32 v87, 16, v49
	s_waitcnt lgkmcnt(3)
	v_lshrrev_b32_e32 v88, 16, v50
	s_waitcnt lgkmcnt(1)
	v_lshrrev_b32_e32 v85, 16, v46
	v_lshrrev_b32_e32 v84, 16, v47
	v_lshrrev_b32_e32 v89, 16, v51
	v_lshrrev_b32_e32 v91, 16, v52
	v_lshrrev_b32_e32 v90, 16, v53
	s_waitcnt lgkmcnt(0)
	v_lshrrev_b32_e32 v78, 16, v20
	v_lshrrev_b32_e32 v79, 16, v21
.LBB0_19:
	s_or_b64 exec, exec, s[4:5]
	s_waitcnt lgkmcnt(1)
	v_add_f16_e32 v92, v54, v56
	v_fma_f16 v92, v92, -0.5, v62
	s_waitcnt lgkmcnt(0)
	v_sub_f16_sdwa v93, v60, v58 dst_sel:DWORD dst_unused:UNUSED_PAD src0_sel:WORD_1 src1_sel:WORD_1
	s_mov_b32 s5, 0xbb9c
	s_movk_i32 s6, 0x3b9c
	v_fma_f16 v94, v93, s5, v92
	v_sub_f16_sdwa v95, v54, v56 dst_sel:DWORD dst_unused:UNUSED_PAD src0_sel:WORD_1 src1_sel:WORD_1
	s_mov_b32 s16, 0xb8b4
	v_sub_f16_e32 v96, v58, v56
	v_sub_f16_e32 v97, v60, v54
	v_fma_f16 v92, v93, s6, v92
	s_movk_i32 s7, 0x38b4
	v_fma_f16 v94, v95, s16, v94
	v_add_f16_e32 v96, v97, v96
	s_movk_i32 s4, 0x34f2
	v_fma_f16 v92, v95, s7, v92
	v_fma_f16 v94, v96, s4, v94
	;; [unrolled: 1-line block ×3, first 2 shown]
	v_add_f16_e32 v96, v60, v58
	v_fma_f16 v96, v96, -0.5, v62
	v_fma_f16 v97, v95, s6, v96
	v_fma_f16 v95, v95, s5, v96
	v_pk_add_f16 v124, v62, v60
	v_fma_f16 v97, v93, s16, v97
	v_sub_f16_e32 v98, v56, v58
	v_sub_f16_e32 v99, v54, v60
	v_fma_f16 v93, v93, s7, v95
	v_add_f16_sdwa v95, v54, v56 dst_sel:DWORD dst_unused:UNUSED_PAD src0_sel:WORD_1 src1_sel:WORD_1
	v_lshrrev_b32_e32 v62, 16, v62
	v_add_f16_e32 v98, v99, v98
	v_fma_f16 v95, v95, -0.5, v62
	v_sub_f16_e32 v96, v60, v58
	v_fma_f16 v97, v98, s4, v97
	v_fma_f16 v93, v98, s4, v93
	;; [unrolled: 1-line block ×3, first 2 shown]
	v_sub_f16_e32 v99, v54, v56
	v_sub_f16_sdwa v100, v60, v54 dst_sel:DWORD dst_unused:UNUSED_PAD src0_sel:WORD_1 src1_sel:WORD_1
	v_sub_f16_sdwa v101, v58, v56 dst_sel:DWORD dst_unused:UNUSED_PAD src0_sel:WORD_1 src1_sel:WORD_1
	v_fma_f16 v95, v96, s5, v95
	v_fma_f16 v98, v99, s7, v98
	v_add_f16_e32 v100, v100, v101
	v_fma_f16 v95, v99, s16, v95
	v_fma_f16 v98, v100, s4, v98
	v_fma_f16 v95, v100, s4, v95
	v_add_f16_sdwa v100, v60, v58 dst_sel:DWORD dst_unused:UNUSED_PAD src0_sel:WORD_1 src1_sel:WORD_1
	v_fma_f16 v62, v100, -0.5, v62
	v_fma_f16 v100, v99, s5, v62
	v_sub_f16_sdwa v60, v54, v60 dst_sel:DWORD dst_unused:UNUSED_PAD src0_sel:WORD_1 src1_sel:WORD_1
	v_sub_f16_sdwa v101, v56, v58 dst_sel:DWORD dst_unused:UNUSED_PAD src0_sel:WORD_1 src1_sel:WORD_1
	v_fma_f16 v62, v99, s6, v62
	v_fma_f16 v100, v96, s7, v100
	v_add_f16_e32 v60, v60, v101
	v_fma_f16 v62, v96, s16, v62
	v_fma_f16 v100, v60, s4, v100
	;; [unrolled: 1-line block ×3, first 2 shown]
	v_add_f16_e32 v62, v55, v57
	v_fma_f16 v62, v62, -0.5, v63
	v_sub_f16_sdwa v96, v61, v59 dst_sel:DWORD dst_unused:UNUSED_PAD src0_sel:WORD_1 src1_sel:WORD_1
	v_fma_f16 v99, v96, s5, v62
	v_sub_f16_sdwa v101, v55, v57 dst_sel:DWORD dst_unused:UNUSED_PAD src0_sel:WORD_1 src1_sel:WORD_1
	v_sub_f16_e32 v102, v59, v57
	v_sub_f16_e32 v103, v61, v55
	v_fma_f16 v62, v96, s6, v62
	v_fma_f16 v99, v101, s16, v99
	v_add_f16_e32 v102, v103, v102
	v_fma_f16 v62, v101, s7, v62
	v_fma_f16 v99, v102, s4, v99
	;; [unrolled: 1-line block ×3, first 2 shown]
	v_add_f16_e32 v102, v61, v59
	v_fma_f16 v102, v102, -0.5, v63
	v_fma_f16 v103, v101, s6, v102
	v_fma_f16 v101, v101, s5, v102
	v_pk_add_f16 v125, v63, v61
	v_fma_f16 v103, v96, s16, v103
	v_sub_f16_e32 v104, v57, v59
	v_sub_f16_e32 v105, v55, v61
	v_fma_f16 v96, v96, s7, v101
	v_add_f16_sdwa v101, v55, v57 dst_sel:DWORD dst_unused:UNUSED_PAD src0_sel:WORD_1 src1_sel:WORD_1
	v_lshrrev_b32_e32 v63, 16, v63
	v_add_f16_e32 v104, v105, v104
	v_fma_f16 v101, v101, -0.5, v63
	v_sub_f16_e32 v102, v61, v59
	v_fma_f16 v103, v104, s4, v103
	v_fma_f16 v96, v104, s4, v96
	;; [unrolled: 1-line block ×3, first 2 shown]
	v_sub_f16_e32 v105, v55, v57
	v_sub_f16_sdwa v106, v61, v55 dst_sel:DWORD dst_unused:UNUSED_PAD src0_sel:WORD_1 src1_sel:WORD_1
	v_sub_f16_sdwa v107, v59, v57 dst_sel:DWORD dst_unused:UNUSED_PAD src0_sel:WORD_1 src1_sel:WORD_1
	v_fma_f16 v101, v102, s5, v101
	v_fma_f16 v104, v105, s7, v104
	v_add_f16_e32 v106, v106, v107
	v_fma_f16 v101, v105, s16, v101
	v_fma_f16 v104, v106, s4, v104
	;; [unrolled: 1-line block ×3, first 2 shown]
	v_add_f16_sdwa v106, v61, v59 dst_sel:DWORD dst_unused:UNUSED_PAD src0_sel:WORD_1 src1_sel:WORD_1
	v_fma_f16 v63, v106, -0.5, v63
	v_fma_f16 v106, v105, s5, v63
	v_sub_f16_sdwa v61, v55, v61 dst_sel:DWORD dst_unused:UNUSED_PAD src0_sel:WORD_1 src1_sel:WORD_1
	v_sub_f16_sdwa v107, v57, v59 dst_sel:DWORD dst_unused:UNUSED_PAD src0_sel:WORD_1 src1_sel:WORD_1
	v_fma_f16 v63, v105, s6, v63
	v_fma_f16 v106, v102, s7, v106
	v_add_f16_e32 v61, v61, v107
	v_fma_f16 v63, v102, s16, v63
	v_fma_f16 v106, v61, s4, v106
	;; [unrolled: 1-line block ×3, first 2 shown]
	v_mul_f16_e32 v63, 0xb8b4, v104
	s_movk_i32 s17, 0x3a79
	v_fma_f16 v63, v99, s17, v63
	v_mul_f16_e32 v105, 0xbb9c, v61
	v_mul_f16_e32 v99, 0x38b4, v99
	;; [unrolled: 1-line block ×4, first 2 shown]
	s_mov_b32 s8, 0xb4f2
	v_fma_f16 v99, v104, s17, v99
	v_mul_f16_e32 v104, 0x34f2, v106
	v_fma_f16 v61, v96, s6, v61
	v_fma_f16 v102, v103, s4, v102
	;; [unrolled: 1-line block ×3, first 2 shown]
	v_mul_f16_e32 v107, 0xb8b4, v101
	s_mov_b32 s9, 0xba79
	v_fma_f16 v103, v103, s6, v104
	v_add_f16_e32 v132, v60, v61
	v_mul_f16_e32 v96, 0xba79, v101
	v_sub_f16_e32 v140, v60, v61
	v_add_f16_e32 v60, v52, v50
	v_add_f16_e32 v126, v94, v63
	v_fma_f16 v107, v62, s9, v107
	v_add_f16_e32 v131, v100, v103
	v_fma_f16 v62, v62, s7, v96
	v_sub_f16_e32 v134, v94, v63
	v_sub_f16_e32 v139, v100, v103
	v_fma_f16 v94, v60, -0.5, v46
	v_sub_f16_e32 v103, v86, v78
	v_add_f16_e32 v128, v93, v105
	v_add_f16_e32 v133, v95, v62
	v_sub_f16_e32 v136, v93, v105
	v_sub_f16_e32 v141, v95, v62
	v_fma_f16 v60, v103, s5, v94
	v_sub_f16_e32 v105, v88, v91
	v_sub_f16_e32 v61, v48, v50
	;; [unrolled: 1-line block ×3, first 2 shown]
	v_fma_f16 v60, v105, s16, v60
	v_add_f16_e32 v106, v62, v61
	v_add_f16_e32 v129, v92, v107
	v_sub_f16_e32 v137, v92, v107
	v_fma_f16 v92, v106, s4, v60
	v_add_f16_e32 v60, v20, v48
	v_fma_f16 v96, v60, -0.5, v46
	v_fma_f16 v60, v105, s6, v96
	v_sub_f16_e32 v61, v50, v48
	v_sub_f16_e32 v62, v52, v20
	v_fma_f16 v60, v103, s16, v60
	v_add_f16_e32 v110, v62, v61
	v_fma_f16 v93, v110, s4, v60
	v_add_f16_e32 v60, v91, v88
	v_fma_f16 v101, v60, -0.5, v85
	v_sub_f16_e32 v109, v48, v20
	v_fma_f16 v60, v109, s6, v101
	v_sub_f16_e32 v111, v50, v52
	v_sub_f16_e32 v61, v86, v88
	;; [unrolled: 1-line block ×3, first 2 shown]
	v_fma_f16 v60, v111, s7, v60
	v_add_f16_e32 v112, v62, v61
	v_fma_f16 v95, v112, s4, v60
	v_add_f16_e32 v60, v78, v86
	v_sub_f16_e32 v61, v88, v86
	v_sub_f16_e32 v62, v91, v78
	v_fma_f16 v100, v60, -0.5, v85
	v_add_f16_e32 v115, v62, v61
	v_sub_f16_e32 v61, v49, v51
	v_sub_f16_e32 v62, v21, v53
	v_fma_f16 v60, v111, s5, v100
	v_add_f16_e32 v118, v62, v61
	v_sub_f16_e32 v62, v51, v49
	v_sub_f16_e32 v63, v53, v21
	v_add_f16_e32 v130, v98, v99
	v_sub_f16_e32 v138, v98, v99
	v_fma_f16 v60, v109, s7, v60
	v_add_f16_e32 v120, v63, v62
	v_add_f16_e32 v62, v90, v89
	v_sub_f16_e32 v63, v87, v89
	v_sub_f16_e32 v98, v79, v90
	v_add_f16_e32 v127, v97, v102
	v_sub_f16_e32 v135, v97, v102
	v_fma_f16 v97, v115, s4, v60
	v_add_f16_e32 v60, v53, v51
	v_fma_f16 v116, v62, -0.5, v84
	v_sub_f16_e32 v119, v49, v21
	v_add_f16_e32 v122, v98, v63
	v_add_f16_e32 v63, v79, v87
	v_pk_add_f16 v54, v124, v54
	v_fma_f16 v108, v60, -0.5, v47
	v_sub_f16_e32 v113, v87, v79
	v_add_f16_e32 v61, v21, v49
	v_fma_f16 v62, v119, s6, v116
	v_sub_f16_e32 v121, v51, v53
	v_fma_f16 v114, v63, -0.5, v84
	v_pk_add_f16 v54, v54, v56
	v_fma_f16 v60, v113, s5, v108
	v_sub_f16_e32 v117, v89, v90
	v_fma_f16 v107, v61, -0.5, v47
	v_fma_f16 v62, v121, s7, v62
	v_fma_f16 v63, v121, s5, v114
	v_sub_f16_e32 v98, v89, v87
	v_sub_f16_e32 v99, v90, v79
	v_pk_add_f16 v58, v54, v58
	v_pk_add_f16 v54, v125, v55
	v_fma_f16 v60, v117, s16, v60
	v_fma_f16 v61, v117, s6, v107
	;; [unrolled: 1-line block ×4, first 2 shown]
	v_add_f16_e32 v123, v99, v98
	v_pk_add_f16 v54, v54, v57
	v_fma_f16 v60, v118, s4, v60
	v_fma_f16 v61, v113, s16, v61
	;; [unrolled: 1-line block ×3, first 2 shown]
	v_mul_f16_e32 v98, 0xb8b4, v62
	v_mul_f16_e32 v62, 0x3a79, v62
	v_pk_add_f16 v59, v54, v59
	v_fma_f16 v61, v120, s4, v61
	v_fma_f16 v98, v60, s17, v98
	v_mul_f16_e32 v99, 0xbb9c, v63
	v_fma_f16 v102, v60, s7, v62
	v_mul_f16_e32 v60, 0x34f2, v63
	v_pk_add_f16 v54, v58, v59
	v_pack_b32_f16 v57, v128, v132
	v_pack_b32_f16 v56, v127, v131
	;; [unrolled: 1-line block ×3, first 2 shown]
	v_fma_f16 v99, v61, s4, v99
	v_fma_f16 v104, v61, s6, v60
	s_barrier
	ds_write2_b64 v77, v[54:55], v[56:57] offset1:1
	v_pk_add_f16 v55, v58, v59 neg_lo:[0,1] neg_hi:[0,1]
	v_pack_b32_f16 v57, v135, v139
	v_pack_b32_f16 v56, v134, v138
	v_pack_b32_f16 v54, v129, v133
	v_sub_f16_e32 v60, v92, v98
	v_sub_f16_e32 v61, v93, v99
	;; [unrolled: 1-line block ×4, first 2 shown]
	ds_write2_b64 v77, v[54:55], v[56:57] offset0:2 offset1:3
	v_pack_b32_f16 v55, v137, v141
	v_pack_b32_f16 v54, v136, v140
	ds_write_b64 v77, v[54:55] offset:32
	s_and_saveexec_b64 s[4:5], s[0:1]
	s_cbranch_execz .LBB0_21
; %bb.20:
	v_mul_f16_e32 v77, 0x3b9c, v109
	v_add_f16_e32 v46, v48, v46
	v_mul_f16_e32 v54, 0x3b9c, v103
	v_mul_f16_e32 v55, 0x38b4, v105
	;; [unrolled: 1-line block ×17, first 2 shown]
	v_sub_f16_e32 v77, v101, v77
	v_add_f16_e32 v46, v50, v46
	v_mul_f16_e32 v111, 0x3b9c, v113
	v_mul_f16_e32 v119, 0x38b4, v119
	v_sub_f16_e32 v77, v77, v103
	v_sub_f16_e32 v103, v116, v120
	v_add_f16_e32 v100, v106, v100
	v_sub_f16_e32 v106, v107, v117
	v_add_f16_e32 v107, v121, v114
	v_add_f16_e32 v46, v52, v46
	v_mul_f16_e32 v113, 0x38b4, v113
	v_mul_f16_e32 v122, 0x34f2, v122
	;; [unrolled: 1-line block ×3, first 2 shown]
	v_add_f16_e32 v101, v111, v108
	v_sub_f16_e32 v103, v103, v124
	v_sub_f16_e32 v107, v107, v119
	v_add_f16_e32 v85, v86, v85
	v_add_f16_e32 v84, v87, v84
	;; [unrolled: 1-line block ×4, first 2 shown]
	v_mul_f16_e32 v109, 0x38b4, v109
	v_add_f16_e32 v101, v112, v101
	v_add_f16_e32 v103, v122, v103
	;; [unrolled: 1-line block ×7, first 2 shown]
	v_sub_f16_e32 v57, v96, v57
	v_add_f16_e32 v46, v51, v46
	v_add_f16_e32 v101, v115, v101
	v_sub_f16_e32 v100, v100, v109
	v_add_f16_e32 v106, v118, v106
	v_mul_f16_e32 v109, 0xb4f2, v107
	v_add_f16_e32 v85, v91, v85
	v_add_f16_e32 v84, v90, v84
	;; [unrolled: 1-line block ×3, first 2 shown]
	v_mul_f16_e32 v55, 0x38b4, v103
	v_add_f16_e32 v57, v58, v57
	v_mul_f16_e32 v58, 0x3b9c, v107
	v_add_f16_e32 v46, v53, v46
	v_add_f16_e32 v77, v105, v77
	v_mul_f16_e32 v105, 0xba79, v103
	v_add_f16_e32 v100, v110, v100
	v_fma_f16 v109, v106, s6, v109
	v_add_f16_e32 v78, v78, v85
	v_add_f16_e32 v79, v79, v84
	;; [unrolled: 1-line block ×3, first 2 shown]
	v_fma_f16 v55, v101, s9, -v55
	v_add_f16_e32 v57, v59, v57
	v_fma_f16 v58, v106, s8, -v58
	v_add_f16_e32 v21, v21, v46
	v_fma_f16 v105, v101, s7, v105
	v_sub_f16_e32 v56, v54, v55
	v_sub_f16_e32 v48, v20, v21
	v_add_f16_e32 v46, v100, v109
	v_add_f16_e32 v50, v97, v104
	;; [unrolled: 1-line block ×9, first 2 shown]
	v_sub_f16_e32 v84, v78, v79
	v_sub_f16_e32 v59, v57, v58
	v_add_f16_e32 v49, v77, v105
	v_lshlrev_b32_e32 v57, 2, v76
	v_pack_b32_f16 v20, v20, v47
	v_pack_b32_f16 v47, v53, v46
	v_pack_b32_f16 v46, v54, v50
	v_pack_b32_f16 v21, v55, v51
	s_mov_b32 s6, 0x5040100
	v_sub_f16_e32 v108, v77, v105
	v_sub_f16_e32 v110, v100, v109
	ds_write2_b64 v57, v[20:21], v[46:47] offset1:1
	v_pack_b32_f16 v21, v48, v84
	v_pack_b32_f16 v20, v52, v49
	v_perm_b32 v47, v62, v61, s6
	v_perm_b32 v46, v63, v60, s6
	ds_write2_b64 v57, v[20:21], v[46:47] offset0:2 offset1:3
	v_pack_b32_f16 v21, v56, v108
	v_pack_b32_f16 v20, v59, v110
	ds_write_b64 v57, v[20:21] offset:32
.LBB0_21:
	s_or_b64 exec, exec, s[4:5]
	s_waitcnt lgkmcnt(0)
	s_barrier
	ds_read2_b32 v[20:21], v64 offset1:90
	v_add_u32_e32 v76, 0x200, v64
	ds_read2_b32 v[46:47], v76 offset0:52 offset1:142
	v_add_u32_e32 v85, 0x400, v64
	ds_read2_b32 v[48:49], v85 offset0:104 offset1:194
	s_waitcnt lgkmcnt(2)
	v_lshrrev_b32_e32 v78, 16, v21
	v_mul_f16_sdwa v101, v0, v78 dst_sel:DWORD dst_unused:UNUSED_PAD src0_sel:WORD_1 src1_sel:DWORD
	s_waitcnt lgkmcnt(1)
	v_lshrrev_b32_e32 v79, 16, v46
	v_fma_f16 v101, v0, v21, v101
	v_mul_f16_sdwa v21, v0, v21 dst_sel:DWORD dst_unused:UNUSED_PAD src0_sel:WORD_1 src1_sel:DWORD
	v_fma_f16 v0, v0, v78, -v21
	v_mul_f16_sdwa v21, v1, v79 dst_sel:DWORD dst_unused:UNUSED_PAD src0_sel:WORD_1 src1_sel:DWORD
	v_lshrrev_b32_e32 v84, 16, v47
	v_add_u32_e32 v86, 0x800, v64
	v_fma_f16 v21, v1, v46, v21
	v_mul_f16_sdwa v46, v1, v46 dst_sel:DWORD dst_unused:UNUSED_PAD src0_sel:WORD_1 src1_sel:DWORD
	ds_read2_b32 v[50:51], v86 offset0:28 offset1:118
	v_fma_f16 v1, v1, v79, -v46
	v_mul_f16_sdwa v46, v2, v84 dst_sel:DWORD dst_unused:UNUSED_PAD src0_sel:WORD_1 src1_sel:DWORD
	s_waitcnt lgkmcnt(1)
	v_lshrrev_b32_e32 v88, 16, v48
	v_fma_f16 v46, v2, v47, v46
	v_mul_f16_sdwa v47, v2, v47 dst_sel:DWORD dst_unused:UNUSED_PAD src0_sel:WORD_1 src1_sel:DWORD
	v_fma_f16 v2, v2, v84, -v47
	v_mul_f16_sdwa v47, v3, v88 dst_sel:DWORD dst_unused:UNUSED_PAD src0_sel:WORD_1 src1_sel:DWORD
	v_add_u32_e32 v87, 0xa00, v64
	v_lshrrev_b32_e32 v89, 16, v49
	v_fma_f16 v47, v3, v48, v47
	v_mul_f16_sdwa v48, v3, v48 dst_sel:DWORD dst_unused:UNUSED_PAD src0_sel:WORD_1 src1_sel:DWORD
	ds_read2_b32 v[52:53], v87 offset0:80 offset1:170
	v_fma_f16 v3, v3, v88, -v48
	v_mul_f16_sdwa v48, v4, v89 dst_sel:DWORD dst_unused:UNUSED_PAD src0_sel:WORD_1 src1_sel:DWORD
	s_waitcnt lgkmcnt(1)
	v_lshrrev_b32_e32 v90, 16, v50
	v_fma_f16 v48, v4, v49, v48
	v_mul_f16_sdwa v49, v4, v49 dst_sel:DWORD dst_unused:UNUSED_PAD src0_sel:WORD_1 src1_sel:DWORD
	v_fma_f16 v4, v4, v89, -v49
	v_mul_f16_sdwa v49, v5, v90 dst_sel:DWORD dst_unused:UNUSED_PAD src0_sel:WORD_1 src1_sel:DWORD
	v_lshrrev_b32_e32 v91, 16, v51
	v_add_u32_e32 v54, 0xc00, v64
	v_fma_f16 v49, v5, v50, v49
	v_mul_f16_sdwa v50, v5, v50 dst_sel:DWORD dst_unused:UNUSED_PAD src0_sel:WORD_1 src1_sel:DWORD
	ds_read2_b32 v[54:55], v54 offset0:132 offset1:222
	v_fma_f16 v5, v5, v90, -v50
	v_mul_f16_sdwa v50, v6, v91 dst_sel:DWORD dst_unused:UNUSED_PAD src0_sel:WORD_1 src1_sel:DWORD
	s_waitcnt lgkmcnt(1)
	v_lshrrev_b32_e32 v92, 16, v52
	v_fma_f16 v50, v6, v51, v50
	v_mul_f16_sdwa v51, v6, v51 dst_sel:DWORD dst_unused:UNUSED_PAD src0_sel:WORD_1 src1_sel:DWORD
	v_fma_f16 v6, v6, v91, -v51
	v_mul_f16_sdwa v51, v7, v92 dst_sel:DWORD dst_unused:UNUSED_PAD src0_sel:WORD_1 src1_sel:DWORD
	v_lshrrev_b32_e32 v93, 16, v53
	v_add_u32_e32 v94, 0x1000, v64
	v_fma_f16 v51, v7, v52, v51
	v_mul_f16_sdwa v52, v7, v52 dst_sel:DWORD dst_unused:UNUSED_PAD src0_sel:WORD_1 src1_sel:DWORD
	ds_read2_b32 v[56:57], v94 offset0:56 offset1:146
	v_fma_f16 v7, v7, v92, -v52
	v_mul_f16_sdwa v52, v8, v93 dst_sel:DWORD dst_unused:UNUSED_PAD src0_sel:WORD_1 src1_sel:DWORD
	s_waitcnt lgkmcnt(1)
	v_lshrrev_b32_e32 v95, 16, v54
	v_fma_f16 v52, v8, v53, v52
	v_mul_f16_sdwa v53, v8, v53 dst_sel:DWORD dst_unused:UNUSED_PAD src0_sel:WORD_1 src1_sel:DWORD
	v_fma_f16 v8, v8, v93, -v53
	v_mul_f16_sdwa v53, v9, v95 dst_sel:DWORD dst_unused:UNUSED_PAD src0_sel:WORD_1 src1_sel:DWORD
	v_add_u32_e32 v58, 0x1200, v64
	v_lshrrev_b32_e32 v96, 16, v55
	v_fma_f16 v53, v9, v54, v53
	v_mul_f16_sdwa v54, v9, v54 dst_sel:DWORD dst_unused:UNUSED_PAD src0_sel:WORD_1 src1_sel:DWORD
	ds_read2_b32 v[58:59], v58 offset0:108 offset1:198
	v_fma_f16 v9, v9, v95, -v54
	v_mul_f16_sdwa v54, v10, v96 dst_sel:DWORD dst_unused:UNUSED_PAD src0_sel:WORD_1 src1_sel:DWORD
	s_waitcnt lgkmcnt(1)
	v_lshrrev_b32_e32 v97, 16, v56
	v_fma_f16 v54, v10, v55, v54
	v_mul_f16_sdwa v55, v10, v55 dst_sel:DWORD dst_unused:UNUSED_PAD src0_sel:WORD_1 src1_sel:DWORD
	v_fma_f16 v10, v10, v96, -v55
	v_mul_f16_sdwa v55, v11, v97 dst_sel:DWORD dst_unused:UNUSED_PAD src0_sel:WORD_1 src1_sel:DWORD
	v_lshrrev_b32_e32 v98, 16, v57
	v_fma_f16 v55, v11, v56, v55
	v_mul_f16_sdwa v56, v11, v56 dst_sel:DWORD dst_unused:UNUSED_PAD src0_sel:WORD_1 src1_sel:DWORD
	v_fma_f16 v11, v11, v97, -v56
	v_mul_f16_sdwa v56, v12, v98 dst_sel:DWORD dst_unused:UNUSED_PAD src0_sel:WORD_1 src1_sel:DWORD
	s_waitcnt lgkmcnt(0)
	v_lshrrev_b32_e32 v99, 16, v58
	v_fma_f16 v56, v12, v57, v56
	v_mul_f16_sdwa v57, v12, v57 dst_sel:DWORD dst_unused:UNUSED_PAD src0_sel:WORD_1 src1_sel:DWORD
	v_fma_f16 v12, v12, v98, -v57
	v_mul_f16_sdwa v57, v13, v99 dst_sel:DWORD dst_unused:UNUSED_PAD src0_sel:WORD_1 src1_sel:DWORD
	v_lshrrev_b32_e32 v100, 16, v59
	v_fma_f16 v57, v13, v58, v57
	v_mul_f16_sdwa v58, v13, v58 dst_sel:DWORD dst_unused:UNUSED_PAD src0_sel:WORD_1 src1_sel:DWORD
	v_fma_f16 v13, v13, v99, -v58
	v_mul_f16_sdwa v58, v14, v100 dst_sel:DWORD dst_unused:UNUSED_PAD src0_sel:WORD_1 src1_sel:DWORD
	v_lshrrev_b32_e32 v77, 16, v20
	v_fma_f16 v58, v14, v59, v58
	v_mul_f16_sdwa v59, v14, v59 dst_sel:DWORD dst_unused:UNUSED_PAD src0_sel:WORD_1 src1_sel:DWORD
	v_sub_f16_e32 v51, v20, v51
	v_sub_f16_e32 v11, v3, v11
	;; [unrolled: 1-line block ×4, first 2 shown]
	v_fma_f16 v14, v14, v100, -v59
	v_sub_f16_e32 v7, v77, v7
	v_sub_f16_e32 v55, v47, v55
	v_fma_f16 v3, v3, 2.0, -v11
	v_sub_f16_e32 v9, v1, v9
	v_sub_f16_e32 v57, v49, v57
	v_fma_f16 v5, v5, 2.0, -v13
	v_sub_f16_e32 v52, v101, v52
	v_sub_f16_e32 v56, v48, v56
	;; [unrolled: 1-line block ×4, first 2 shown]
	v_add_f16_e32 v11, v51, v11
	v_add_f16_e32 v13, v53, v13
	v_fma_f16 v20, v20, 2.0, -v51
	v_fma_f16 v59, v77, 2.0, -v7
	;; [unrolled: 1-line block ×6, first 2 shown]
	v_sub_f16_e32 v12, v4, v12
	v_fma_f16 v48, v48, 2.0, -v56
	v_fma_f16 v46, v46, 2.0, -v54
	v_sub_f16_e32 v14, v6, v14
	v_fma_f16 v50, v50, 2.0, -v58
	v_sub_f16_e32 v55, v7, v55
	v_fma_f16 v51, v51, 2.0, -v11
	v_sub_f16_e32 v57, v9, v57
	v_fma_f16 v53, v53, 2.0, -v13
	s_mov_b32 s4, 0xb9a8
	v_fma_f16 v1, v1, 2.0, -v9
	v_sub_f16_e32 v8, v0, v8
	v_fma_f16 v4, v4, 2.0, -v12
	v_sub_f16_e32 v10, v2, v10
	;; [unrolled: 2-line block ×5, first 2 shown]
	v_add_f16_e32 v12, v52, v12
	v_sub_f16_e32 v50, v46, v50
	v_add_f16_e32 v14, v54, v14
	v_fma_f16 v78, v53, s4, v51
	s_movk_i32 s5, 0x39a8
	v_fma_f16 v20, v20, 2.0, -v47
	v_fma_f16 v21, v21, 2.0, -v49
	;; [unrolled: 1-line block ×3, first 2 shown]
	v_sub_f16_e32 v56, v8, v56
	v_fma_f16 v52, v52, 2.0, -v12
	v_fma_f16 v46, v46, 2.0, -v50
	v_sub_f16_e32 v58, v10, v58
	v_fma_f16 v54, v54, 2.0, -v14
	v_fma_f16 v79, v9, s4, v7
	v_fma_f16 v9, v9, s5, v78
	;; [unrolled: 1-line block ×3, first 2 shown]
	v_fma_f16 v0, v0, 2.0, -v8
	v_fma_f16 v2, v2, 2.0, -v10
	;; [unrolled: 1-line block ×4, first 2 shown]
	v_sub_f16_e32 v21, v20, v21
	v_fma_f16 v53, v53, s4, v79
	v_fma_f16 v79, v57, s5, v55
	;; [unrolled: 1-line block ×3, first 2 shown]
	v_sub_f16_e32 v46, v77, v46
	v_fma_f16 v78, v54, s4, v52
	v_sub_f16_e32 v5, v1, v5
	v_sub_f16_e32 v6, v2, v6
	v_fma_f16 v20, v20, 2.0, -v21
	v_fma_f16 v13, v13, s4, v79
	v_fma_f16 v77, v77, 2.0, -v46
	v_fma_f16 v79, v10, s4, v8
	v_fma_f16 v10, v10, s5, v78
	v_sub_f16_e32 v3, v59, v3
	v_fma_f16 v1, v1, 2.0, -v5
	v_sub_f16_e32 v4, v0, v4
	v_fma_f16 v2, v2, 2.0, -v6
	v_fma_f16 v51, v51, 2.0, -v9
	v_add_f16_e32 v5, v47, v5
	v_fma_f16 v54, v54, s4, v79
	v_fma_f16 v52, v52, 2.0, -v10
	v_add_f16_e32 v6, v48, v6
	v_fma_f16 v78, v14, s5, v12
	v_sub_f16_e32 v77, v20, v77
	s_mov_b32 s6, 0xbb64
	v_fma_f16 v7, v7, 2.0, -v53
	v_sub_f16_e32 v49, v3, v49
	v_fma_f16 v47, v47, 2.0, -v5
	v_fma_f16 v8, v8, 2.0, -v54
	v_sub_f16_e32 v50, v4, v50
	v_fma_f16 v48, v48, 2.0, -v6
	v_fma_f16 v79, v58, s5, v56
	v_fma_f16 v58, v58, s5, v78
	v_fma_f16 v78, v20, 2.0, -v77
	v_fma_f16 v20, v52, s6, v51
	s_movk_i32 s7, 0x361f
	v_fma_f16 v59, v59, 2.0, -v3
	v_fma_f16 v0, v0, 2.0, -v4
	;; [unrolled: 1-line block ×5, first 2 shown]
	v_fma_f16 v14, v14, s4, v79
	v_fma_f16 v12, v12, 2.0, -v58
	v_fma_f16 v79, v8, s6, v7
	v_fma_f16 v8, v8, s7, v20
	s_mov_b32 s8, 0xb61f
	v_fma_f16 v20, v48, s4, v47
	v_fma_f16 v55, v55, 2.0, -v13
	v_fma_f16 v56, v56, 2.0, -v14
	v_fma_f16 v52, v52, s8, v79
	v_fma_f16 v79, v4, s4, v3
	;; [unrolled: 1-line block ×4, first 2 shown]
	s_movk_i32 s9, 0x3b64
	v_sub_f16_e32 v1, v59, v1
	v_sub_f16_e32 v2, v0, v2
	v_fma_f16 v48, v48, s4, v79
	v_fma_f16 v79, v56, s8, v55
	;; [unrolled: 1-line block ×4, first 2 shown]
	v_fma_f16 v59, v59, 2.0, -v1
	v_fma_f16 v0, v0, 2.0, -v2
	v_fma_f16 v12, v12, s6, v79
	v_sub_f16_e32 v79, v1, v46
	v_fma_f16 v46, v54, s7, v53
	v_fma_f16 v54, v54, s9, v20
	v_fma_f16 v20, v6, s5, v5
	v_sub_f16_e32 v0, v59, v0
	v_fma_f16 v10, v10, s6, v46
	v_fma_f16 v46, v50, s5, v49
	;; [unrolled: 1-line block ×4, first 2 shown]
	v_fma_f16 v59, v59, 2.0, -v0
	v_fma_f16 v51, v51, 2.0, -v8
	;; [unrolled: 1-line block ×3, first 2 shown]
	v_fma_f16 v20, v14, s7, v20
	v_fma_f16 v47, v47, 2.0, -v4
	v_fma_f16 v3, v3, 2.0, -v48
	;; [unrolled: 1-line block ×4, first 2 shown]
	v_add_f16_e32 v2, v21, v2
	v_fma_f16 v6, v6, s4, v46
	v_fma_f16 v46, v14, s9, v13
	v_fma_f16 v14, v57, 2.0, -v20
	v_pack_b32_f16 v57, v78, v59
	v_pack_b32_f16 v7, v51, v7
	v_fma_f16 v21, v21, 2.0, -v2
	v_fma_f16 v1, v1, 2.0, -v79
	;; [unrolled: 1-line block ×4, first 2 shown]
	v_fma_f16 v46, v58, s8, v46
	s_barrier
	ds_write2_b32 v80, v57, v7 offset1:10
	v_pack_b32_f16 v3, v47, v3
	v_pack_b32_f16 v7, v11, v55
	v_fma_f16 v5, v5, 2.0, -v50
	v_fma_f16 v49, v49, 2.0, -v6
	v_fma_f16 v13, v13, 2.0, -v46
	ds_write2_b32 v80, v3, v7 offset0:20 offset1:30
	v_pack_b32_f16 v1, v21, v1
	v_pack_b32_f16 v3, v9, v53
	ds_write2_b32 v80, v1, v3 offset0:40 offset1:50
	v_pack_b32_f16 v1, v5, v49
	v_pack_b32_f16 v3, v14, v13
	;; [unrolled: 3-line block ×6, first 2 shown]
	v_add_u32_e32 v2, 0xe00, v64
	ds_write2_b32 v80, v0, v1 offset0:140 offset1:150
	s_waitcnt lgkmcnt(0)
	s_barrier
	ds_read2_b32 v[4:5], v64 offset1:90
	ds_read2_b32 v[0:1], v85 offset0:104 offset1:224
	ds_read2_b32 v[12:13], v2 offset0:64 offset1:154
	;; [unrolled: 1-line block ×6, first 2 shown]
	ds_read_b32 v14, v64 offset:5280
	s_and_saveexec_b64 s[4:5], s[2:3]
	s_cbranch_execz .LBB0_23
; %bb.22:
	ds_read_b32 v20, v64 offset:1800
	ds_read_b32 v60, v64 offset:3720
	;; [unrolled: 1-line block ×3, first 2 shown]
	s_waitcnt lgkmcnt(2)
	v_lshrrev_b32_e32 v46, 16, v20
	s_waitcnt lgkmcnt(1)
	v_lshrrev_b32_e32 v63, 16, v60
	;; [unrolled: 2-line block ×3, first 2 shown]
.LBB0_23:
	s_or_b64 exec, exec, s[4:5]
	s_waitcnt lgkmcnt(6)
	v_lshrrev_b32_e32 v47, 16, v1
	v_mul_f16_sdwa v77, v22, v47 dst_sel:DWORD dst_unused:UNUSED_PAD src0_sel:WORD_1 src1_sel:DWORD
	s_waitcnt lgkmcnt(5)
	v_lshrrev_b32_e32 v48, 16, v12
	v_fma_f16 v77, v22, v1, v77
	v_mul_f16_sdwa v1, v22, v1 dst_sel:DWORD dst_unused:UNUSED_PAD src0_sel:WORD_1 src1_sel:DWORD
	v_fma_f16 v1, v22, v47, -v1
	v_mul_f16_sdwa v22, v23, v48 dst_sel:DWORD dst_unused:UNUSED_PAD src0_sel:WORD_1 src1_sel:DWORD
	s_waitcnt lgkmcnt(4)
	v_lshrrev_b32_e32 v50, 16, v10
	v_fma_f16 v22, v23, v12, v22
	v_mul_f16_sdwa v12, v23, v12 dst_sel:DWORD dst_unused:UNUSED_PAD src0_sel:WORD_1 src1_sel:DWORD
	v_fma_f16 v12, v23, v48, -v12
	v_mul_f16_sdwa v23, v24, v50 dst_sel:DWORD dst_unused:UNUSED_PAD src0_sel:WORD_1 src1_sel:DWORD
	v_lshrrev_b32_e32 v51, 16, v13
	v_fma_f16 v23, v24, v10, v23
	v_mul_f16_sdwa v10, v24, v10 dst_sel:DWORD dst_unused:UNUSED_PAD src0_sel:WORD_1 src1_sel:DWORD
	v_fma_f16 v10, v24, v50, -v10
	v_mul_f16_sdwa v24, v25, v51 dst_sel:DWORD dst_unused:UNUSED_PAD src0_sel:WORD_1 src1_sel:DWORD
	;; [unrolled: 5-line block ×3, first 2 shown]
	s_waitcnt lgkmcnt(2)
	v_lshrrev_b32_e32 v54, 16, v8
	v_fma_f16 v25, v28, v11, v25
	v_mul_f16_sdwa v11, v28, v11 dst_sel:DWORD dst_unused:UNUSED_PAD src0_sel:WORD_1 src1_sel:DWORD
	v_fma_f16 v11, v28, v53, -v11
	v_mul_f16_sdwa v28, v29, v54 dst_sel:DWORD dst_unused:UNUSED_PAD src0_sel:WORD_1 src1_sel:DWORD
	s_waitcnt lgkmcnt(1)
	v_lshrrev_b32_e32 v56, 16, v6
	v_fma_f16 v28, v29, v8, v28
	v_mul_f16_sdwa v8, v29, v8 dst_sel:DWORD dst_unused:UNUSED_PAD src0_sel:WORD_1 src1_sel:DWORD
	v_fma_f16 v8, v29, v54, -v8
	v_mul_f16_sdwa v29, v26, v56 dst_sel:DWORD dst_unused:UNUSED_PAD src0_sel:WORD_1 src1_sel:DWORD
	v_lshrrev_b32_e32 v57, 16, v9
	v_fma_f16 v29, v26, v6, v29
	v_mul_f16_sdwa v6, v26, v6 dst_sel:DWORD dst_unused:UNUSED_PAD src0_sel:WORD_1 src1_sel:DWORD
	v_fma_f16 v6, v26, v56, -v6
	v_mul_f16_sdwa v26, v27, v57 dst_sel:DWORD dst_unused:UNUSED_PAD src0_sel:WORD_1 src1_sel:DWORD
	;; [unrolled: 5-line block ×3, first 2 shown]
	s_waitcnt lgkmcnt(0)
	v_lshrrev_b32_e32 v76, 16, v14
	v_fma_f16 v27, v30, v7, v27
	v_mul_f16_sdwa v7, v30, v7 dst_sel:DWORD dst_unused:UNUSED_PAD src0_sel:WORD_1 src1_sel:DWORD
	v_fma_f16 v7, v30, v59, -v7
	v_mul_f16_sdwa v30, v31, v76 dst_sel:DWORD dst_unused:UNUSED_PAD src0_sel:WORD_1 src1_sel:DWORD
	v_fma_f16 v30, v31, v14, v30
	v_mul_f16_sdwa v14, v31, v14 dst_sel:DWORD dst_unused:UNUSED_PAD src0_sel:WORD_1 src1_sel:DWORD
	v_fma_f16 v14, v31, v76, -v14
	v_mul_f16_sdwa v31, v32, v63 dst_sel:DWORD dst_unused:UNUSED_PAD src0_sel:WORD_1 src1_sel:DWORD
	v_mul_f16_sdwa v47, v32, v60 dst_sel:DWORD dst_unused:UNUSED_PAD src0_sel:WORD_1 src1_sel:DWORD
	v_fma_f16 v31, v32, v60, v31
	v_fma_f16 v32, v32, v63, -v47
	v_mul_f16_sdwa v47, v33, v62 dst_sel:DWORD dst_unused:UNUSED_PAD src0_sel:WORD_1 src1_sel:DWORD
	v_mul_f16_sdwa v48, v33, v61 dst_sel:DWORD dst_unused:UNUSED_PAD src0_sel:WORD_1 src1_sel:DWORD
	v_add_f16_e32 v50, v77, v22
	v_lshrrev_b32_e32 v21, 16, v4
	v_fma_f16 v47, v33, v61, v47
	v_fma_f16 v33, v33, v62, -v48
	v_add_f16_e32 v48, v4, v77
	v_fma_f16 v4, v50, -0.5, v4
	v_sub_f16_e32 v50, v1, v12
	s_mov_b32 s4, 0xbaee
	s_movk_i32 s5, 0x3aee
	v_fma_f16 v51, v50, s4, v4
	v_fma_f16 v4, v50, s5, v4
	v_add_f16_e32 v50, v21, v1
	v_add_f16_e32 v1, v1, v12
	v_add_f16_e32 v50, v50, v12
	v_fma_f16 v1, v1, -0.5, v21
	v_sub_f16_e32 v12, v77, v22
	v_add_f16_e32 v21, v23, v24
	v_lshrrev_b32_e32 v49, 16, v5
	v_fma_f16 v53, v12, s5, v1
	v_fma_f16 v1, v12, s4, v1
	v_add_f16_e32 v12, v5, v23
	v_fma_f16 v5, v21, -0.5, v5
	v_sub_f16_e32 v21, v10, v13
	v_fma_f16 v54, v21, s4, v5
	v_fma_f16 v5, v21, s5, v5
	v_add_f16_e32 v21, v49, v10
	v_add_f16_e32 v10, v10, v13
	v_add_f16_e32 v56, v21, v13
	v_fma_f16 v10, v10, -0.5, v49
	v_sub_f16_e32 v13, v23, v24
	v_add_f16_e32 v21, v25, v28
	v_lshrrev_b32_e32 v52, 16, v2
	v_fma_f16 v49, v13, s5, v10
	v_fma_f16 v10, v13, s4, v10
	v_add_f16_e32 v13, v2, v25
	v_fma_f16 v2, v21, -0.5, v2
	v_sub_f16_e32 v21, v11, v8
	;; [unrolled: 14-line block ×3, first 2 shown]
	v_add_f16_e32 v13, v13, v28
	v_fma_f16 v28, v21, s4, v3
	v_fma_f16 v3, v21, s5, v3
	v_add_f16_e32 v21, v55, v6
	v_add_f16_e32 v6, v6, v9
	;; [unrolled: 1-line block ×3, first 2 shown]
	v_fma_f16 v6, v6, -0.5, v55
	v_sub_f16_e32 v9, v29, v26
	v_add_f16_e32 v21, v27, v30
	v_lshrrev_b32_e32 v58, 16, v0
	v_add_f16_e32 v11, v11, v26
	v_fma_f16 v26, v9, s5, v6
	v_fma_f16 v6, v9, s4, v6
	v_add_f16_e32 v9, v0, v27
	v_fma_f16 v0, v21, -0.5, v0
	v_sub_f16_e32 v21, v7, v14
	v_fma_f16 v29, v21, s4, v0
	v_fma_f16 v0, v21, s5, v0
	v_add_f16_e32 v21, v58, v7
	v_add_f16_e32 v7, v7, v14
	;; [unrolled: 1-line block ×7, first 2 shown]
	v_fma_f16 v7, v7, -0.5, v58
	v_sub_f16_e32 v14, v27, v30
	v_fma_f16 v24, v23, -0.5, v46
	v_sub_f16_e32 v30, v31, v47
	v_pack_b32_f16 v1, v4, v1
	v_fma_f16 v27, v14, s5, v7
	v_fma_f16 v7, v14, s4, v7
	v_add_f16_e32 v14, v31, v20
	v_add_f16_e32 v21, v31, v47
	v_fma_f16 v23, v30, s5, v24
	v_fma_f16 v24, v30, s4, v24
	s_barrier
	v_pack_b32_f16 v30, v48, v50
	v_pack_b32_f16 v31, v51, v53
	ds_write_b32 v64, v1 offset:1280
	v_pack_b32_f16 v1, v12, v56
	v_pack_b32_f16 v4, v54, v49
	ds_write2_b32 v64, v30, v31 offset1:160
	ds_write2_b32 v81, v1, v4 offset1:160
	v_pack_b32_f16 v1, v5, v10
	ds_write_b32 v81, v1 offset:1280
	v_pack_b32_f16 v1, v13, v59
	v_pack_b32_f16 v4, v57, v25
	v_add_u32_e32 v5, 0x700, v64
	ds_write2_b32 v5, v1, v4 offset0:52 offset1:212
	v_pack_b32_f16 v1, v2, v8
	v_fma_f16 v21, v21, -0.5, v20
	v_sub_f16_e32 v22, v32, v33
	ds_write_b32 v64, v1 offset:3280
	v_pack_b32_f16 v1, v11, v52
	v_pack_b32_f16 v2, v28, v26
	v_fma_f16 v20, v22, s4, v21
	v_fma_f16 v21, v22, s5, v21
	v_add_f16_e32 v22, v32, v46
	ds_write2_b32 v82, v1, v2 offset1:160
	v_pack_b32_f16 v1, v3, v6
	v_add_f16_e32 v14, v14, v47
	v_add_f16_e32 v22, v33, v22
	ds_write_b32 v82, v1 offset:1280
	v_pack_b32_f16 v1, v9, v55
	v_pack_b32_f16 v2, v29, v27
	v_add_u32_e32 v3, 0xe00, v83
	v_pack_b32_f16 v0, v0, v7
	ds_write2_b32 v3, v1, v2 offset0:64 offset1:224
	ds_write_b32 v83, v0 offset:5120
	s_and_saveexec_b64 s[4:5], s[2:3]
	s_cbranch_execz .LBB0_25
; %bb.24:
	s_mov_b32 s6, 0x5040100
	v_perm_b32 v0, v22, v14, s6
	v_perm_b32 v1, v23, v20, s6
	v_add_u32_e32 v2, 0xe00, v18
	ds_write2_b32 v2, v0, v1 offset0:64 offset1:224
	v_perm_b32 v0, v24, v21, s6
	ds_write_b32 v18, v0 offset:5120
.LBB0_25:
	s_or_b64 exec, exec, s[4:5]
	v_add_u32_e32 v0, 0x400, v64
	v_add_u32_e32 v2, 0xe00, v64
	;; [unrolled: 1-line block ×6, first 2 shown]
	s_waitcnt lgkmcnt(0)
	s_barrier
	ds_read2_b32 v[4:5], v64 offset1:90
	ds_read2_b32 v[0:1], v0 offset0:104 offset1:224
	ds_read2_b32 v[12:13], v2 offset0:64 offset1:154
	;; [unrolled: 1-line block ×6, first 2 shown]
	ds_read_b32 v28, v64 offset:5280
	s_and_saveexec_b64 s[4:5], s[2:3]
	s_cbranch_execz .LBB0_27
; %bb.26:
	ds_read_b32 v14, v64 offset:1800
	ds_read_b32 v20, v64 offset:3720
	;; [unrolled: 1-line block ×3, first 2 shown]
	s_waitcnt lgkmcnt(2)
	v_lshrrev_b32_e32 v22, 16, v14
	s_waitcnt lgkmcnt(1)
	v_lshrrev_b32_e32 v23, 16, v20
	s_waitcnt lgkmcnt(0)
	v_lshrrev_b32_e32 v24, 16, v21
.LBB0_27:
	s_or_b64 exec, exec, s[4:5]
	s_waitcnt lgkmcnt(6)
	v_lshrrev_b32_e32 v30, 16, v1
	v_mul_f16_sdwa v56, v36, v30 dst_sel:DWORD dst_unused:UNUSED_PAD src0_sel:WORD_1 src1_sel:DWORD
	s_waitcnt lgkmcnt(5)
	v_lshrrev_b32_e32 v31, 16, v12
	v_fma_f16 v56, v36, v1, v56
	v_mul_f16_sdwa v1, v36, v1 dst_sel:DWORD dst_unused:UNUSED_PAD src0_sel:WORD_1 src1_sel:DWORD
	v_fma_f16 v1, v36, v30, -v1
	v_mul_f16_sdwa v30, v37, v31 dst_sel:DWORD dst_unused:UNUSED_PAD src0_sel:WORD_1 src1_sel:DWORD
	s_waitcnt lgkmcnt(2)
	v_lshrrev_b32_e32 v49, 16, v8
	v_fma_f16 v30, v37, v12, v30
	v_mul_f16_sdwa v12, v37, v12 dst_sel:DWORD dst_unused:UNUSED_PAD src0_sel:WORD_1 src1_sel:DWORD
	v_lshrrev_b32_e32 v48, 16, v11
	v_fma_f16 v12, v37, v31, -v12
	v_mul_f16_sdwa v37, v41, v49 dst_sel:DWORD dst_unused:UNUSED_PAD src0_sel:WORD_1 src1_sel:DWORD
	v_lshrrev_b32_e32 v33, 16, v10
	s_waitcnt lgkmcnt(0)
	v_lshrrev_b32_e32 v55, 16, v28
	v_mul_f16_sdwa v36, v40, v48 dst_sel:DWORD dst_unused:UNUSED_PAD src0_sel:WORD_1 src1_sel:DWORD
	v_fma_f16 v37, v41, v8, v37
	v_mul_f16_sdwa v8, v41, v8 dst_sel:DWORD dst_unused:UNUSED_PAD src0_sel:WORD_1 src1_sel:DWORD
	v_lshrrev_b32_e32 v54, 16, v7
	v_mul_f16_sdwa v31, v38, v33 dst_sel:DWORD dst_unused:UNUSED_PAD src0_sel:WORD_1 src1_sel:DWORD
	v_fma_f16 v36, v40, v11, v36
	v_mul_f16_sdwa v11, v40, v11 dst_sel:DWORD dst_unused:UNUSED_PAD src0_sel:WORD_1 src1_sel:DWORD
	v_fma_f16 v8, v41, v49, -v8
	v_mul_f16_sdwa v41, v43, v55 dst_sel:DWORD dst_unused:UNUSED_PAD src0_sel:WORD_1 src1_sel:DWORD
	v_lshrrev_b32_e32 v51, 16, v6
	v_fma_f16 v31, v38, v10, v31
	v_mul_f16_sdwa v10, v38, v10 dst_sel:DWORD dst_unused:UNUSED_PAD src0_sel:WORD_1 src1_sel:DWORD
	v_fma_f16 v11, v40, v48, -v11
	v_mul_f16_sdwa v40, v42, v54 dst_sel:DWORD dst_unused:UNUSED_PAD src0_sel:WORD_1 src1_sel:DWORD
	v_fma_f16 v41, v43, v28, v41
	v_mul_f16_sdwa v28, v43, v28 dst_sel:DWORD dst_unused:UNUSED_PAD src0_sel:WORD_1 src1_sel:DWORD
	v_lshrrev_b32_e32 v46, 16, v13
	v_fma_f16 v10, v38, v33, -v10
	v_mul_f16_sdwa v38, v44, v51 dst_sel:DWORD dst_unused:UNUSED_PAD src0_sel:WORD_1 src1_sel:DWORD
	v_fma_f16 v40, v42, v7, v40
	v_mul_f16_sdwa v7, v42, v7 dst_sel:DWORD dst_unused:UNUSED_PAD src0_sel:WORD_1 src1_sel:DWORD
	v_fma_f16 v28, v43, v55, -v28
	v_add_f16_e32 v43, v56, v30
	v_lshrrev_b32_e32 v29, 16, v4
	v_mul_f16_sdwa v33, v39, v46 dst_sel:DWORD dst_unused:UNUSED_PAD src0_sel:WORD_1 src1_sel:DWORD
	v_fma_f16 v38, v44, v6, v38
	v_mul_f16_sdwa v6, v44, v6 dst_sel:DWORD dst_unused:UNUSED_PAD src0_sel:WORD_1 src1_sel:DWORD
	v_fma_f16 v7, v42, v54, -v7
	v_add_f16_e32 v42, v4, v56
	v_fma_f16 v4, v43, -0.5, v4
	v_sub_f16_e32 v43, v1, v12
	s_mov_b32 s6, 0xbaee
	s_movk_i32 s7, 0x3aee
	v_lshrrev_b32_e32 v52, 16, v9
	v_fma_f16 v33, v39, v13, v33
	v_mul_f16_sdwa v13, v39, v13 dst_sel:DWORD dst_unused:UNUSED_PAD src0_sel:WORD_1 src1_sel:DWORD
	v_fma_f16 v6, v44, v51, -v6
	v_fma_f16 v44, v43, s6, v4
	v_fma_f16 v4, v43, s7, v4
	v_add_f16_e32 v43, v29, v1
	v_add_f16_e32 v1, v1, v12
	v_fma_f16 v13, v39, v46, -v13
	v_mul_f16_sdwa v39, v45, v52 dst_sel:DWORD dst_unused:UNUSED_PAD src0_sel:WORD_1 src1_sel:DWORD
	v_add_f16_e32 v42, v42, v30
	v_add_f16_e32 v43, v43, v12
	v_fma_f16 v1, v1, -0.5, v29
	v_sub_f16_e32 v12, v56, v30
	v_add_f16_e32 v30, v31, v33
	v_lshrrev_b32_e32 v32, 16, v5
	v_fma_f16 v39, v45, v9, v39
	v_mul_f16_sdwa v9, v45, v9 dst_sel:DWORD dst_unused:UNUSED_PAD src0_sel:WORD_1 src1_sel:DWORD
	v_fma_f16 v29, v12, s7, v1
	v_fma_f16 v1, v12, s6, v1
	v_add_f16_e32 v12, v5, v31
	v_fma_f16 v5, v30, -0.5, v5
	v_sub_f16_e32 v30, v10, v13
	v_fma_f16 v9, v45, v52, -v9
	v_fma_f16 v45, v30, s6, v5
	v_fma_f16 v5, v30, s7, v5
	v_add_f16_e32 v30, v32, v10
	v_add_f16_e32 v10, v10, v13
	;; [unrolled: 1-line block ×3, first 2 shown]
	v_fma_f16 v10, v10, -0.5, v32
	v_sub_f16_e32 v13, v31, v33
	v_add_f16_e32 v32, v36, v37
	v_lshrrev_b32_e32 v47, 16, v2
	v_fma_f16 v31, v13, s7, v10
	v_fma_f16 v10, v13, s6, v10
	v_add_f16_e32 v13, v2, v36
	v_fma_f16 v2, v32, -0.5, v2
	v_sub_f16_e32 v32, v11, v8
	v_add_f16_e32 v12, v12, v33
	v_fma_f16 v33, v32, s6, v2
	v_fma_f16 v2, v32, s7, v2
	v_add_f16_e32 v32, v47, v11
	v_add_f16_e32 v32, v32, v8
	;; [unrolled: 1-line block ×4, first 2 shown]
	v_fma_f16 v8, v8, -0.5, v47
	v_sub_f16_e32 v11, v36, v37
	v_add_f16_e32 v37, v38, v39
	v_lshrrev_b32_e32 v50, 16, v3
	v_fma_f16 v36, v11, s7, v8
	v_fma_f16 v8, v11, s6, v8
	v_add_f16_e32 v11, v3, v38
	v_fma_f16 v3, v37, -0.5, v3
	v_sub_f16_e32 v37, v6, v9
	v_fma_f16 v46, v37, s6, v3
	v_fma_f16 v3, v37, s7, v3
	v_add_f16_e32 v37, v50, v6
	v_add_f16_e32 v6, v6, v9
	;; [unrolled: 1-line block ×4, first 2 shown]
	v_fma_f16 v6, v6, -0.5, v50
	v_sub_f16_e32 v9, v38, v39
	v_add_f16_e32 v39, v40, v41
	v_lshrrev_b32_e32 v53, 16, v0
	v_fma_f16 v38, v9, s7, v6
	v_fma_f16 v6, v9, s6, v6
	v_add_f16_e32 v9, v0, v40
	v_fma_f16 v0, v39, -0.5, v0
	v_sub_f16_e32 v39, v7, v28
	v_fma_f16 v47, v39, s6, v0
	v_fma_f16 v0, v39, s7, v0
	v_add_f16_e32 v39, v53, v7
	v_add_f16_e32 v7, v7, v28
	v_add_f16_e32 v39, v39, v28
	v_fma_f16 v7, v7, -0.5, v53
	v_sub_f16_e32 v28, v40, v41
	v_pack_b32_f16 v1, v4, v1
	v_fma_f16 v40, v28, s7, v7
	v_fma_f16 v7, v28, s6, v7
	v_pack_b32_f16 v28, v42, v43
	v_pack_b32_f16 v29, v44, v29
	ds_write_b32 v64, v1 offset:3840
	v_pack_b32_f16 v1, v12, v30
	ds_write_b32 v64, v29 offset:1920
	ds_write2_b32 v64, v28, v1 offset1:90
	v_pack_b32_f16 v1, v45, v31
	v_pack_b32_f16 v4, v5, v10
	;; [unrolled: 1-line block ×3, first 2 shown]
	v_add_f16_e32 v9, v9, v41
	ds_write_b32 v64, v4 offset:4200
	ds_write2_b32 v18, v1, v5 offset0:58 offset1:148
	v_pack_b32_f16 v1, v2, v8
	v_pack_b32_f16 v3, v3, v6
	;; [unrolled: 1-line block ×4, first 2 shown]
	ds_write2_b32 v26, v1, v3 offset0:116 offset1:206
	v_pack_b32_f16 v1, v9, v39
	ds_write2_b32 v27, v4, v2 offset0:52 offset1:142
	v_pack_b32_f16 v2, v46, v38
	ds_write_b32 v64, v1 offset:1440
	v_pack_b32_f16 v1, v47, v40
	v_pack_b32_f16 v0, v0, v7
	ds_write2_b32 v25, v2, v1 offset0:110 offset1:200
	ds_write_b32 v64, v0 offset:5280
	s_and_saveexec_b64 s[4:5], s[2:3]
	s_cbranch_execz .LBB0_29
; %bb.28:
	v_mul_f16_sdwa v0, v35, v21 dst_sel:DWORD dst_unused:UNUSED_PAD src0_sel:WORD_1 src1_sel:DWORD
	v_mul_f16_sdwa v1, v34, v20 dst_sel:DWORD dst_unused:UNUSED_PAD src0_sel:WORD_1 src1_sel:DWORD
	;; [unrolled: 1-line block ×4, first 2 shown]
	v_fma_f16 v0, v35, v24, -v0
	v_fma_f16 v1, v34, v23, -v1
	v_fma_f16 v3, v34, v20, v3
	v_fma_f16 v5, v35, v21, v5
	v_add_f16_e32 v2, v1, v22
	v_add_f16_e32 v4, v3, v14
	;; [unrolled: 1-line block ×3, first 2 shown]
	v_sub_f16_e32 v7, v3, v5
	v_add_f16_e32 v3, v3, v5
	v_add_f16_e32 v2, v0, v2
	v_fma_f16 v6, v6, -0.5, v22
	v_fma_f16 v3, v3, -0.5, v14
	v_sub_f16_e32 v0, v1, v0
	v_fma_f16 v8, v7, s6, v6
	v_fma_f16 v6, v7, s7, v6
	;; [unrolled: 1-line block ×4, first 2 shown]
	v_add_f16_e32 v4, v4, v5
	v_pack_b32_f16 v0, v0, v6
	v_pack_b32_f16 v2, v4, v2
	ds_write_b32 v64, v0 offset:3720
	v_pack_b32_f16 v0, v1, v8
	ds_write_b32 v64, v2 offset:1800
	ds_write_b32 v64, v0 offset:5640
.LBB0_29:
	s_or_b64 exec, exec, s[4:5]
	s_waitcnt lgkmcnt(0)
	s_barrier
	ds_read2_b32 v[2:3], v64 offset1:144
	s_mov_b32 s6, 0x16c16c17
	s_mov_b32 s7, 0x3f46c16c
	v_mad_u64_u32 v[4:5], s[2:3], s14, v19, 0
	s_waitcnt lgkmcnt(0)
	v_lshrrev_b32_e32 v7, 16, v2
	v_mul_f16_sdwa v0, v75, v7 dst_sel:DWORD dst_unused:UNUSED_PAD src0_sel:WORD_1 src1_sel:DWORD
	v_fma_f16 v0, v75, v2, v0
	v_cvt_f32_f16_e32 v0, v0
	s_movk_i32 s17, 0x1ff
	v_mad_u64_u32 v[5:6], s[2:3], s15, v19, v[5:6]
	v_cvt_f64_f32_e32 v[0:1], v0
	s_movk_i32 s14, 0xffe
	v_mul_f16_sdwa v2, v75, v2 dst_sel:DWORD dst_unused:UNUSED_PAD src0_sel:WORD_1 src1_sel:DWORD
	v_fma_f16 v2, v75, v7, -v2
	v_mul_f64 v[0:1], v[0:1], s[6:7]
	v_cvt_f32_f16_e32 v7, v2
	v_mov_b32_e32 v2, 0x7c00
	s_movk_i32 s15, 0x40f
	s_mov_b32 s16, 0x8000
	v_lshrrev_b32_e32 v11, 16, v3
	v_lshlrev_b64 v[4:5], 2, v[4:5]
	v_mov_b32_e32 v12, s11
	v_and_or_b32 v0, v1, s17, v0
	v_cmp_ne_u32_e32 vcc, 0, v0
	v_lshrrev_b32_e32 v6, 8, v1
	v_bfe_u32 v8, v1, 20, 11
	v_cndmask_b32_e64 v0, 0, 1, vcc
	v_and_or_b32 v0, v6, s14, v0
	v_sub_u32_e32 v9, 0x3f1, v8
	v_or_b32_e32 v6, 0x1000, v0
	v_med3_i32 v9, v9, 0, 13
	v_lshrrev_b32_e32 v10, v9, v6
	v_lshlrev_b32_e32 v9, v9, v10
	v_cmp_ne_u32_e32 vcc, v9, v6
	v_cndmask_b32_e64 v6, 0, 1, vcc
	v_add_u32_e32 v8, 0xfffffc10, v8
	v_or_b32_e32 v6, v10, v6
	v_lshl_or_b32 v9, v8, 12, v0
	v_cmp_gt_i32_e32 vcc, 1, v8
	v_cndmask_b32_e32 v6, v9, v6, vcc
	v_and_b32_e32 v9, 7, v6
	v_cmp_lt_i32_e32 vcc, 5, v9
	v_cmp_eq_u32_e64 s[2:3], 3, v9
	v_lshrrev_b32_e32 v6, 2, v6
	s_or_b64 vcc, s[2:3], vcc
	v_addc_co_u32_e32 v9, vcc, 0, v6, vcc
	v_cvt_f64_f32_e32 v[6:7], v7
	v_cmp_gt_i32_e32 vcc, 31, v8
	v_cndmask_b32_e32 v9, v2, v9, vcc
	v_cmp_ne_u32_e32 vcc, 0, v0
	v_mul_f64 v[6:7], v[6:7], s[6:7]
	v_cndmask_b32_e64 v0, 0, 1, vcc
	v_lshl_or_b32 v0, v0, 9, v2
	v_cmp_eq_u32_e32 vcc, s15, v8
	v_cndmask_b32_e32 v0, v9, v0, vcc
	v_lshrrev_b32_e32 v1, 16, v1
	v_and_or_b32 v10, v1, s16, v0
	s_movk_i32 s18, 0x1000
	v_and_or_b32 v0, v7, s17, v6
	v_cmp_ne_u32_e32 vcc, 0, v0
	v_cndmask_b32_e64 v0, 0, 1, vcc
	v_lshrrev_b32_e32 v1, 8, v7
	v_bfe_u32 v6, v7, 20, 11
	v_and_or_b32 v0, v1, s14, v0
	v_sub_u32_e32 v8, 0x3f1, v6
	v_or_b32_e32 v1, 0x1000, v0
	v_med3_i32 v8, v8, 0, 13
	v_lshrrev_b32_e32 v9, v8, v1
	v_lshlrev_b32_e32 v8, v8, v9
	v_cmp_ne_u32_e32 vcc, v8, v1
	v_cndmask_b32_e64 v1, 0, 1, vcc
	v_add_u32_e32 v6, 0xfffffc10, v6
	v_or_b32_e32 v1, v9, v1
	v_lshl_or_b32 v8, v6, 12, v0
	v_cmp_gt_i32_e32 vcc, 1, v6
	v_cndmask_b32_e32 v1, v8, v1, vcc
	v_and_b32_e32 v8, 7, v1
	v_cmp_lt_i32_e32 vcc, 5, v8
	v_cmp_eq_u32_e64 s[2:3], 3, v8
	v_lshrrev_b32_e32 v1, 2, v1
	s_or_b64 vcc, s[2:3], vcc
	v_addc_co_u32_e32 v1, vcc, 0, v1, vcc
	v_cmp_gt_i32_e32 vcc, 31, v6
	v_mad_u64_u32 v[8:9], s[2:3], s12, v17, 0
	v_cndmask_b32_e32 v1, v2, v1, vcc
	v_cmp_ne_u32_e32 vcc, 0, v0
	v_cndmask_b32_e64 v0, 0, 1, vcc
	v_lshl_or_b32 v0, v0, 9, v2
	v_cmp_eq_u32_e32 vcc, s15, v6
	v_cndmask_b32_e32 v6, v1, v0, vcc
	v_mov_b32_e32 v0, v9
	v_mad_u64_u32 v[0:1], s[2:3], s13, v17, v[0:1]
	v_mul_f16_sdwa v1, v74, v11 dst_sel:DWORD dst_unused:UNUSED_PAD src0_sel:WORD_1 src1_sel:DWORD
	v_fma_f16 v1, v74, v3, v1
	v_cvt_f32_f16_e32 v1, v1
	v_mov_b32_e32 v9, v0
	v_lshrrev_b32_e32 v7, 16, v7
	v_and_or_b32 v6, v7, s16, v6
	v_cvt_f64_f32_e32 v[0:1], v1
	v_and_b32_e32 v7, 0xffff, v10
	v_lshl_or_b32 v10, v6, 16, v7
	v_mul_f16_sdwa v3, v74, v3 dst_sel:DWORD dst_unused:UNUSED_PAD src0_sel:WORD_1 src1_sel:DWORD
	v_mul_f64 v[6:7], v[0:1], s[6:7]
	v_add_co_u32_e32 v0, vcc, s10, v4
	v_addc_co_u32_e32 v1, vcc, v12, v5, vcc
	v_lshlrev_b64 v[4:5], 2, v[8:9]
	v_fma_f16 v3, v74, v11, -v3
	v_add_co_u32_e32 v8, vcc, v0, v4
	v_addc_co_u32_e32 v9, vcc, v1, v5, vcc
	v_and_or_b32 v4, v7, s17, v6
	v_cmp_ne_u32_e32 vcc, 0, v4
	v_cndmask_b32_e64 v4, 0, 1, vcc
	v_lshrrev_b32_e32 v5, 8, v7
	v_bfe_u32 v6, v7, 20, 11
	global_store_dword v[8:9], v10, off
	v_and_or_b32 v5, v5, s14, v4
	v_sub_u32_e32 v10, 0x3f1, v6
	v_or_b32_e32 v4, 0x1000, v5
	v_med3_i32 v10, v10, 0, 13
	v_lshrrev_b32_e32 v12, v10, v4
	v_lshlrev_b32_e32 v10, v10, v12
	v_cmp_ne_u32_e32 vcc, v10, v4
	v_cndmask_b32_e64 v4, 0, 1, vcc
	v_add_u32_e32 v6, 0xfffffc10, v6
	v_cvt_f32_f16_e32 v3, v3
	v_or_b32_e32 v4, v12, v4
	v_lshl_or_b32 v10, v6, 12, v5
	v_cmp_gt_i32_e32 vcc, 1, v6
	v_cndmask_b32_e32 v4, v10, v4, vcc
	v_and_b32_e32 v10, 7, v4
	v_cmp_lt_i32_e32 vcc, 5, v10
	v_cmp_eq_u32_e64 s[2:3], 3, v10
	v_lshrrev_b32_e32 v10, 2, v4
	v_cvt_f64_f32_e32 v[3:4], v3
	s_or_b64 vcc, s[2:3], vcc
	v_addc_co_u32_e32 v10, vcc, 0, v10, vcc
	v_mul_f64 v[3:4], v[3:4], s[6:7]
	v_cmp_gt_i32_e32 vcc, 31, v6
	v_cndmask_b32_e32 v10, v2, v10, vcc
	v_cmp_ne_u32_e32 vcc, 0, v5
	v_cndmask_b32_e64 v5, 0, 1, vcc
	v_lshl_or_b32 v5, v5, 9, v2
	v_cmp_eq_u32_e32 vcc, s15, v6
	v_cndmask_b32_e32 v5, v10, v5, vcc
	v_and_or_b32 v3, v4, s17, v3
	v_lshrrev_b32_e32 v6, 16, v7
	v_cmp_ne_u32_e32 vcc, 0, v3
	v_and_or_b32 v7, v6, s16, v5
	v_cndmask_b32_e64 v3, 0, 1, vcc
	v_lshrrev_b32_e32 v5, 8, v4
	v_bfe_u32 v6, v4, 20, 11
	v_and_or_b32 v3, v5, s14, v3
	v_sub_u32_e32 v10, 0x3f1, v6
	v_or_b32_e32 v5, 0x1000, v3
	v_med3_i32 v10, v10, 0, 13
	v_lshrrev_b32_e32 v11, v10, v5
	v_lshlrev_b32_e32 v10, v10, v11
	v_cmp_ne_u32_e32 vcc, v10, v5
	v_cndmask_b32_e64 v5, 0, 1, vcc
	v_add_u32_e32 v10, 0xfffffc10, v6
	v_or_b32_e32 v5, v11, v5
	v_lshl_or_b32 v6, v10, 12, v3
	v_cmp_gt_i32_e32 vcc, 1, v10
	v_cndmask_b32_e32 v5, v6, v5, vcc
	v_and_b32_e32 v6, 7, v5
	v_cmp_lt_i32_e32 vcc, 5, v6
	v_cmp_eq_u32_e64 s[2:3], 3, v6
	v_lshrrev_b32_e32 v5, 2, v5
	s_or_b64 vcc, s[2:3], vcc
	v_addc_co_u32_e32 v5, vcc, 0, v5, vcc
	v_cmp_gt_i32_e32 vcc, 31, v10
	v_cndmask_b32_e32 v11, v2, v5, vcc
	v_add_u32_e32 v5, 0x400, v64
	ds_read2_b32 v[5:6], v5 offset0:32 offset1:176
	v_cmp_ne_u32_e32 vcc, 0, v3
	v_cndmask_b32_e64 v3, 0, 1, vcc
	v_lshl_or_b32 v3, v3, 9, v2
	v_cmp_eq_u32_e32 vcc, s15, v10
	v_cndmask_b32_e32 v3, v11, v3, vcc
	v_lshrrev_b32_e32 v4, 16, v4
	s_waitcnt lgkmcnt(0)
	v_lshrrev_b32_e32 v12, 16, v5
	v_and_or_b32 v10, v4, s16, v3
	v_mul_f16_sdwa v3, v73, v12 dst_sel:DWORD dst_unused:UNUSED_PAD src0_sel:WORD_1 src1_sel:DWORD
	v_fma_f16 v3, v73, v5, v3
	v_cvt_f32_f16_e32 v3, v3
	v_and_b32_e32 v7, 0xffff, v7
	v_lshl_or_b32 v13, v10, 16, v7
	s_mul_i32 s2, s13, 0x90
	v_cvt_f64_f32_e32 v[3:4], v3
	s_mul_hi_u32 s3, s12, 0x90
	s_add_i32 s3, s3, s2
	s_mul_i32 s2, s12, 0x90
	v_mul_f64 v[10:11], v[3:4], s[6:7]
	s_lshl_b64 s[8:9], s[2:3], 2
	v_mov_b32_e32 v4, s9
	v_add_co_u32_e32 v7, vcc, s8, v8
	v_addc_co_u32_e32 v8, vcc, v9, v4, vcc
	global_store_dword v[7:8], v13, off
	v_and_or_b32 v3, v11, s17, v10
	v_cmp_ne_u32_e32 vcc, 0, v3
	v_cndmask_b32_e64 v3, 0, 1, vcc
	v_lshrrev_b32_e32 v9, 8, v11
	v_bfe_u32 v10, v11, 20, 11
	v_and_or_b32 v3, v9, s14, v3
	v_sub_u32_e32 v13, 0x3f1, v10
	v_or_b32_e32 v9, 0x1000, v3
	v_med3_i32 v13, v13, 0, 13
	v_lshrrev_b32_e32 v14, v13, v9
	v_lshlrev_b32_e32 v13, v13, v14
	v_mul_f16_sdwa v5, v73, v5 dst_sel:DWORD dst_unused:UNUSED_PAD src0_sel:WORD_1 src1_sel:DWORD
	v_cmp_ne_u32_e32 vcc, v13, v9
	v_fma_f16 v5, v73, v12, -v5
	v_cndmask_b32_e64 v9, 0, 1, vcc
	v_add_u32_e32 v13, 0xfffffc10, v10
	v_cvt_f32_f16_e32 v5, v5
	v_or_b32_e32 v9, v14, v9
	v_lshl_or_b32 v10, v13, 12, v3
	v_cmp_gt_i32_e32 vcc, 1, v13
	v_cndmask_b32_e32 v9, v10, v9, vcc
	v_and_b32_e32 v10, 7, v9
	v_cmp_lt_i32_e32 vcc, 5, v10
	v_cmp_eq_u32_e64 s[2:3], 3, v10
	v_lshrrev_b32_e32 v12, 2, v9
	v_cvt_f64_f32_e32 v[9:10], v5
	s_or_b64 vcc, s[2:3], vcc
	v_addc_co_u32_e32 v5, vcc, 0, v12, vcc
	v_mul_f64 v[9:10], v[9:10], s[6:7]
	v_cmp_gt_i32_e32 vcc, 31, v13
	v_cndmask_b32_e32 v5, v2, v5, vcc
	v_cmp_ne_u32_e32 vcc, 0, v3
	v_cndmask_b32_e64 v3, 0, 1, vcc
	v_lshl_or_b32 v3, v3, 9, v2
	v_cmp_eq_u32_e32 vcc, s15, v13
	v_cndmask_b32_e32 v3, v5, v3, vcc
	v_lshrrev_b32_e32 v5, 16, v11
	v_and_or_b32 v3, v5, s16, v3
	v_and_or_b32 v5, v10, s17, v9
	v_cmp_ne_u32_e32 vcc, 0, v5
	v_cndmask_b32_e64 v5, 0, 1, vcc
	v_lshrrev_b32_e32 v9, 8, v10
	v_bfe_u32 v11, v10, 20, 11
	v_and_or_b32 v5, v9, s14, v5
	v_sub_u32_e32 v12, 0x3f1, v11
	v_or_b32_e32 v9, 0x1000, v5
	v_med3_i32 v12, v12, 0, 13
	v_lshrrev_b32_e32 v13, v12, v9
	v_lshlrev_b32_e32 v12, v12, v13
	v_cmp_ne_u32_e32 vcc, v12, v9
	v_cndmask_b32_e64 v9, 0, 1, vcc
	v_or_b32_e32 v9, v13, v9
	v_add_u32_e32 v13, 0xfffffc10, v11
	v_lshl_or_b32 v11, v13, 12, v5
	v_cmp_gt_i32_e32 vcc, 1, v13
	v_cndmask_b32_e32 v9, v11, v9, vcc
	v_and_b32_e32 v11, 7, v9
	v_lshrrev_b32_e32 v14, 16, v6
	v_cmp_lt_i32_e32 vcc, 5, v11
	v_cmp_eq_u32_e64 s[2:3], 3, v11
	v_mul_f16_sdwa v11, v72, v14 dst_sel:DWORD dst_unused:UNUSED_PAD src0_sel:WORD_1 src1_sel:DWORD
	v_fma_f16 v11, v72, v6, v11
	v_cvt_f32_f16_e32 v11, v11
	v_lshrrev_b32_e32 v9, 2, v9
	s_or_b64 vcc, s[2:3], vcc
	v_addc_co_u32_e32 v9, vcc, 0, v9, vcc
	v_cmp_gt_i32_e32 vcc, 31, v13
	v_cndmask_b32_e32 v9, v2, v9, vcc
	v_cmp_ne_u32_e32 vcc, 0, v5
	v_cvt_f64_f32_e32 v[11:12], v11
	v_cndmask_b32_e64 v5, 0, 1, vcc
	v_lshl_or_b32 v5, v5, 9, v2
	v_cmp_eq_u32_e32 vcc, s15, v13
	v_cndmask_b32_e32 v5, v9, v5, vcc
	v_lshrrev_b32_e32 v9, 16, v10
	v_and_or_b32 v5, v9, s16, v5
	v_mul_f64 v[9:10], v[11:12], s[6:7]
	v_and_b32_e32 v3, 0xffff, v3
	v_add_co_u32_e32 v7, vcc, s8, v7
	v_lshl_or_b32 v3, v5, 16, v3
	v_addc_co_u32_e32 v8, vcc, v8, v4, vcc
	global_store_dword v[7:8], v3, off
	v_and_or_b32 v3, v10, s17, v9
	v_cmp_ne_u32_e32 vcc, 0, v3
	v_cndmask_b32_e64 v3, 0, 1, vcc
	v_lshrrev_b32_e32 v5, 8, v10
	v_bfe_u32 v9, v10, 20, 11
	v_and_or_b32 v3, v5, s14, v3
	v_sub_u32_e32 v11, 0x3f1, v9
	v_or_b32_e32 v5, 0x1000, v3
	v_med3_i32 v11, v11, 0, 13
	v_lshrrev_b32_e32 v12, v11, v5
	v_lshlrev_b32_e32 v11, v11, v12
	v_mul_f16_sdwa v6, v72, v6 dst_sel:DWORD dst_unused:UNUSED_PAD src0_sel:WORD_1 src1_sel:DWORD
	v_cmp_ne_u32_e32 vcc, v11, v5
	v_fma_f16 v6, v72, v14, -v6
	v_cndmask_b32_e64 v5, 0, 1, vcc
	v_add_u32_e32 v9, 0xfffffc10, v9
	v_cvt_f32_f16_e32 v6, v6
	v_or_b32_e32 v5, v12, v5
	v_lshl_or_b32 v11, v9, 12, v3
	v_cmp_gt_i32_e32 vcc, 1, v9
	v_cndmask_b32_e32 v5, v11, v5, vcc
	v_and_b32_e32 v11, 7, v5
	v_cmp_lt_i32_e32 vcc, 5, v11
	v_cmp_eq_u32_e64 s[2:3], 3, v11
	v_lshrrev_b32_e32 v11, 2, v5
	v_cvt_f64_f32_e32 v[5:6], v6
	s_or_b64 vcc, s[2:3], vcc
	v_addc_co_u32_e32 v11, vcc, 0, v11, vcc
	v_mul_f64 v[5:6], v[5:6], s[6:7]
	v_cmp_gt_i32_e32 vcc, 31, v9
	v_cndmask_b32_e32 v11, v2, v11, vcc
	v_cmp_ne_u32_e32 vcc, 0, v3
	v_cndmask_b32_e64 v3, 0, 1, vcc
	v_lshl_or_b32 v3, v3, 9, v2
	v_cmp_eq_u32_e32 vcc, s15, v9
	v_cndmask_b32_e32 v3, v11, v3, vcc
	v_and_or_b32 v5, v6, s17, v5
	v_lshrrev_b32_e32 v9, 16, v10
	v_cmp_ne_u32_e32 vcc, 0, v5
	v_and_or_b32 v3, v9, s16, v3
	v_cndmask_b32_e64 v5, 0, 1, vcc
	v_lshrrev_b32_e32 v9, 8, v6
	v_bfe_u32 v10, v6, 20, 11
	v_and_or_b32 v5, v9, s14, v5
	v_sub_u32_e32 v11, 0x3f1, v10
	v_or_b32_e32 v9, 0x1000, v5
	v_med3_i32 v11, v11, 0, 13
	v_lshrrev_b32_e32 v12, v11, v9
	v_lshlrev_b32_e32 v11, v11, v12
	v_cmp_ne_u32_e32 vcc, v11, v9
	v_cndmask_b32_e64 v9, 0, 1, vcc
	v_add_u32_e32 v13, 0xfffffc10, v10
	v_or_b32_e32 v9, v12, v9
	v_lshl_or_b32 v10, v13, 12, v5
	v_cmp_gt_i32_e32 vcc, 1, v13
	v_cndmask_b32_e32 v9, v10, v9, vcc
	v_and_b32_e32 v10, 7, v9
	v_lshrrev_b32_e32 v11, 2, v9
	v_add_u32_e32 v9, 0x800, v64
	v_cmp_lt_i32_e32 vcc, 5, v10
	v_cmp_eq_u32_e64 s[2:3], 3, v10
	ds_read2_b32 v[9:10], v9 offset0:64 offset1:208
	s_or_b64 vcc, s[2:3], vcc
	v_addc_co_u32_e32 v11, vcc, 0, v11, vcc
	v_cmp_gt_i32_e32 vcc, 31, v13
	s_waitcnt lgkmcnt(0)
	v_lshrrev_b32_e32 v17, 16, v9
	v_cndmask_b32_e32 v14, v2, v11, vcc
	v_mul_f16_sdwa v11, v71, v17 dst_sel:DWORD dst_unused:UNUSED_PAD src0_sel:WORD_1 src1_sel:DWORD
	v_fma_f16 v11, v71, v9, v11
	v_cvt_f32_f16_e32 v11, v11
	v_cmp_ne_u32_e32 vcc, 0, v5
	v_cndmask_b32_e64 v5, 0, 1, vcc
	v_lshl_or_b32 v5, v5, 9, v2
	v_cvt_f64_f32_e32 v[11:12], v11
	v_cmp_eq_u32_e32 vcc, s15, v13
	v_cndmask_b32_e32 v5, v14, v5, vcc
	v_lshrrev_b32_e32 v6, 16, v6
	v_and_or_b32 v13, v6, s16, v5
	v_mul_f64 v[5:6], v[11:12], s[6:7]
	v_and_b32_e32 v3, 0xffff, v3
	v_add_co_u32_e32 v7, vcc, s8, v7
	v_lshl_or_b32 v3, v13, 16, v3
	v_addc_co_u32_e32 v8, vcc, v8, v4, vcc
	global_store_dword v[7:8], v3, off
	v_and_or_b32 v3, v6, s17, v5
	v_cmp_ne_u32_e32 vcc, 0, v3
	v_cndmask_b32_e64 v3, 0, 1, vcc
	v_lshrrev_b32_e32 v5, 8, v6
	v_bfe_u32 v11, v6, 20, 11
	v_and_or_b32 v3, v5, s14, v3
	v_sub_u32_e32 v12, 0x3f1, v11
	v_or_b32_e32 v5, 0x1000, v3
	v_med3_i32 v12, v12, 0, 13
	v_lshrrev_b32_e32 v13, v12, v5
	v_lshlrev_b32_e32 v12, v12, v13
	v_cmp_ne_u32_e32 vcc, v12, v5
	v_mul_f16_sdwa v9, v71, v9 dst_sel:DWORD dst_unused:UNUSED_PAD src0_sel:WORD_1 src1_sel:DWORD
	v_cndmask_b32_e64 v5, 0, 1, vcc
	v_fma_f16 v9, v71, v17, -v9
	v_or_b32_e32 v5, v13, v5
	v_add_u32_e32 v13, 0xfffffc10, v11
	v_cvt_f32_f16_e32 v9, v9
	v_lshl_or_b32 v11, v13, 12, v3
	v_cmp_gt_i32_e32 vcc, 1, v13
	v_cndmask_b32_e32 v5, v11, v5, vcc
	v_and_b32_e32 v11, 7, v5
	v_cmp_lt_i32_e32 vcc, 5, v11
	v_cmp_eq_u32_e64 s[2:3], 3, v11
	v_cvt_f64_f32_e32 v[11:12], v9
	v_lshrrev_b32_e32 v5, 2, v5
	s_or_b64 vcc, s[2:3], vcc
	v_addc_co_u32_e32 v5, vcc, 0, v5, vcc
	v_mul_f64 v[11:12], v[11:12], s[6:7]
	v_cmp_gt_i32_e32 vcc, 31, v13
	v_cndmask_b32_e32 v5, v2, v5, vcc
	v_cmp_ne_u32_e32 vcc, 0, v3
	v_cndmask_b32_e64 v3, 0, 1, vcc
	v_lshl_or_b32 v3, v3, 9, v2
	v_cmp_eq_u32_e32 vcc, s15, v13
	v_cndmask_b32_e32 v3, v5, v3, vcc
	v_lshrrev_b32_e32 v5, 16, v6
	v_and_or_b32 v3, v5, s16, v3
	v_and_or_b32 v5, v12, s17, v11
	v_cmp_ne_u32_e32 vcc, 0, v5
	v_cndmask_b32_e64 v5, 0, 1, vcc
	v_lshrrev_b32_e32 v6, 8, v12
	v_bfe_u32 v9, v12, 20, 11
	v_and_or_b32 v5, v6, s14, v5
	v_sub_u32_e32 v11, 0x3f1, v9
	v_or_b32_e32 v6, 0x1000, v5
	v_med3_i32 v11, v11, 0, 13
	v_lshrrev_b32_e32 v13, v11, v6
	v_lshlrev_b32_e32 v11, v11, v13
	v_cmp_ne_u32_e32 vcc, v11, v6
	v_cndmask_b32_e64 v6, 0, 1, vcc
	v_add_u32_e32 v9, 0xfffffc10, v9
	v_or_b32_e32 v6, v13, v6
	v_lshl_or_b32 v11, v9, 12, v5
	v_cmp_gt_i32_e32 vcc, 1, v9
	v_cndmask_b32_e32 v6, v11, v6, vcc
	v_and_b32_e32 v11, 7, v6
	v_cmp_lt_i32_e32 vcc, 5, v11
	v_cmp_eq_u32_e64 s[2:3], 3, v11
	v_lshrrev_b32_e32 v6, 2, v6
	s_or_b64 vcc, s[2:3], vcc
	v_addc_co_u32_e32 v6, vcc, 0, v6, vcc
	v_cmp_gt_i32_e32 vcc, 31, v9
	v_lshrrev_b32_e32 v13, 16, v10
	v_cndmask_b32_e32 v11, v2, v6, vcc
	v_mul_f16_sdwa v6, v70, v13 dst_sel:DWORD dst_unused:UNUSED_PAD src0_sel:WORD_1 src1_sel:DWORD
	v_fma_f16 v6, v70, v10, v6
	v_cvt_f32_f16_e32 v6, v6
	v_cmp_ne_u32_e32 vcc, 0, v5
	v_cndmask_b32_e64 v5, 0, 1, vcc
	v_lshl_or_b32 v14, v5, 9, v2
	v_cvt_f64_f32_e32 v[5:6], v6
	v_cmp_eq_u32_e32 vcc, s15, v9
	v_cndmask_b32_e32 v9, v11, v14, vcc
	v_lshrrev_b32_e32 v11, 16, v12
	v_mul_f64 v[5:6], v[5:6], s[6:7]
	v_and_or_b32 v9, v11, s16, v9
	v_and_b32_e32 v3, 0xffff, v3
	v_add_co_u32_e32 v7, vcc, s8, v7
	v_lshl_or_b32 v3, v9, 16, v3
	v_addc_co_u32_e32 v8, vcc, v8, v4, vcc
	global_store_dword v[7:8], v3, off
	v_and_or_b32 v3, v6, s17, v5
	v_cmp_ne_u32_e32 vcc, 0, v3
	v_cndmask_b32_e64 v3, 0, 1, vcc
	v_lshrrev_b32_e32 v5, 8, v6
	v_bfe_u32 v9, v6, 20, 11
	v_and_or_b32 v3, v5, s14, v3
	v_sub_u32_e32 v11, 0x3f1, v9
	v_or_b32_e32 v5, 0x1000, v3
	v_med3_i32 v11, v11, 0, 13
	v_lshrrev_b32_e32 v12, v11, v5
	v_lshlrev_b32_e32 v11, v11, v12
	v_mul_f16_sdwa v10, v70, v10 dst_sel:DWORD dst_unused:UNUSED_PAD src0_sel:WORD_1 src1_sel:DWORD
	v_cmp_ne_u32_e32 vcc, v11, v5
	v_fma_f16 v10, v70, v13, -v10
	v_cndmask_b32_e64 v5, 0, 1, vcc
	v_add_u32_e32 v11, 0xfffffc10, v9
	v_cvt_f32_f16_e32 v10, v10
	v_or_b32_e32 v5, v12, v5
	v_lshl_or_b32 v9, v11, 12, v3
	v_cmp_gt_i32_e32 vcc, 1, v11
	v_cndmask_b32_e32 v5, v9, v5, vcc
	v_and_b32_e32 v9, 7, v5
	v_cmp_lt_i32_e32 vcc, 5, v9
	v_cmp_eq_u32_e64 s[2:3], 3, v9
	v_cvt_f64_f32_e32 v[9:10], v10
	v_lshrrev_b32_e32 v5, 2, v5
	s_or_b64 vcc, s[2:3], vcc
	v_addc_co_u32_e32 v5, vcc, 0, v5, vcc
	v_mul_f64 v[9:10], v[9:10], s[6:7]
	v_cmp_gt_i32_e32 vcc, 31, v11
	v_cndmask_b32_e32 v5, v2, v5, vcc
	v_cmp_ne_u32_e32 vcc, 0, v3
	v_cndmask_b32_e64 v3, 0, 1, vcc
	v_lshl_or_b32 v3, v3, 9, v2
	v_cmp_eq_u32_e32 vcc, s15, v11
	v_cndmask_b32_e32 v3, v5, v3, vcc
	v_lshrrev_b32_e32 v5, 16, v6
	v_and_or_b32 v3, v5, s16, v3
	v_and_or_b32 v5, v10, s17, v9
	v_cmp_ne_u32_e32 vcc, 0, v5
	v_cndmask_b32_e64 v5, 0, 1, vcc
	v_lshrrev_b32_e32 v6, 8, v10
	v_and_or_b32 v9, v6, s14, v5
	v_bfe_u32 v6, v10, 20, 11
	v_sub_u32_e32 v11, 0x3f1, v6
	v_or_b32_e32 v5, 0x1000, v9
	v_med3_i32 v11, v11, 0, 13
	v_lshrrev_b32_e32 v12, v11, v5
	v_lshlrev_b32_e32 v11, v11, v12
	v_cmp_ne_u32_e32 vcc, v11, v5
	v_cndmask_b32_e64 v5, 0, 1, vcc
	v_add_u32_e32 v13, 0xfffffc10, v6
	v_or_b32_e32 v5, v12, v5
	v_lshl_or_b32 v6, v13, 12, v9
	v_cmp_gt_i32_e32 vcc, 1, v13
	v_cndmask_b32_e32 v5, v6, v5, vcc
	v_and_b32_e32 v6, 7, v5
	v_lshrrev_b32_e32 v11, 2, v5
	v_add_u32_e32 v5, 0xc00, v64
	v_cmp_lt_i32_e32 vcc, 5, v6
	v_cmp_eq_u32_e64 s[2:3], 3, v6
	ds_read2_b32 v[5:6], v5 offset0:96 offset1:240
	s_or_b64 vcc, s[2:3], vcc
	v_addc_co_u32_e32 v11, vcc, 0, v11, vcc
	v_cmp_gt_i32_e32 vcc, 31, v13
	s_waitcnt lgkmcnt(0)
	v_lshrrev_b32_e32 v17, 16, v5
	v_cndmask_b32_e32 v14, v2, v11, vcc
	v_mul_f16_sdwa v11, v69, v17 dst_sel:DWORD dst_unused:UNUSED_PAD src0_sel:WORD_1 src1_sel:DWORD
	v_fma_f16 v11, v69, v5, v11
	v_cvt_f32_f16_e32 v11, v11
	v_cmp_ne_u32_e32 vcc, 0, v9
	v_cndmask_b32_e64 v9, 0, 1, vcc
	v_lshl_or_b32 v9, v9, 9, v2
	v_cvt_f64_f32_e32 v[11:12], v11
	v_cmp_eq_u32_e32 vcc, s15, v13
	v_cndmask_b32_e32 v9, v14, v9, vcc
	v_lshrrev_b32_e32 v10, 16, v10
	v_and_or_b32 v13, v10, s16, v9
	v_mul_f64 v[9:10], v[11:12], s[6:7]
	v_and_b32_e32 v3, 0xffff, v3
	v_add_co_u32_e32 v7, vcc, s8, v7
	v_lshl_or_b32 v3, v13, 16, v3
	v_addc_co_u32_e32 v8, vcc, v8, v4, vcc
	global_store_dword v[7:8], v3, off
	v_and_or_b32 v3, v10, s17, v9
	v_cmp_ne_u32_e32 vcc, 0, v3
	v_cndmask_b32_e64 v3, 0, 1, vcc
	v_lshrrev_b32_e32 v9, 8, v10
	v_bfe_u32 v11, v10, 20, 11
	v_and_or_b32 v3, v9, s14, v3
	v_sub_u32_e32 v12, 0x3f1, v11
	v_or_b32_e32 v9, 0x1000, v3
	v_med3_i32 v12, v12, 0, 13
	v_lshrrev_b32_e32 v13, v12, v9
	v_lshlrev_b32_e32 v12, v12, v13
	v_cmp_ne_u32_e32 vcc, v12, v9
	v_mul_f16_sdwa v5, v69, v5 dst_sel:DWORD dst_unused:UNUSED_PAD src0_sel:WORD_1 src1_sel:DWORD
	v_cndmask_b32_e64 v9, 0, 1, vcc
	v_fma_f16 v5, v69, v17, -v5
	v_or_b32_e32 v9, v13, v9
	v_add_u32_e32 v13, 0xfffffc10, v11
	v_cvt_f32_f16_e32 v5, v5
	v_lshl_or_b32 v11, v13, 12, v3
	v_cmp_gt_i32_e32 vcc, 1, v13
	v_cndmask_b32_e32 v9, v11, v9, vcc
	v_and_b32_e32 v11, 7, v9
	v_cmp_lt_i32_e32 vcc, 5, v11
	v_cmp_eq_u32_e64 s[2:3], 3, v11
	v_cvt_f64_f32_e32 v[11:12], v5
	v_lshrrev_b32_e32 v9, 2, v9
	s_or_b64 vcc, s[2:3], vcc
	v_addc_co_u32_e32 v5, vcc, 0, v9, vcc
	v_mul_f64 v[11:12], v[11:12], s[6:7]
	v_cmp_gt_i32_e32 vcc, 31, v13
	v_cndmask_b32_e32 v5, v2, v5, vcc
	v_cmp_ne_u32_e32 vcc, 0, v3
	v_cndmask_b32_e64 v3, 0, 1, vcc
	v_lshl_or_b32 v3, v3, 9, v2
	v_cmp_eq_u32_e32 vcc, s15, v13
	v_cndmask_b32_e32 v3, v5, v3, vcc
	v_lshrrev_b32_e32 v5, 16, v10
	v_and_or_b32 v3, v5, s16, v3
	v_and_or_b32 v5, v12, s17, v11
	v_cmp_ne_u32_e32 vcc, 0, v5
	v_cndmask_b32_e64 v5, 0, 1, vcc
	v_lshrrev_b32_e32 v9, 8, v12
	v_bfe_u32 v10, v12, 20, 11
	v_and_or_b32 v5, v9, s14, v5
	v_sub_u32_e32 v11, 0x3f1, v10
	v_or_b32_e32 v9, 0x1000, v5
	v_med3_i32 v11, v11, 0, 13
	v_lshrrev_b32_e32 v13, v11, v9
	v_lshlrev_b32_e32 v11, v11, v13
	v_cmp_ne_u32_e32 vcc, v11, v9
	v_cndmask_b32_e64 v9, 0, 1, vcc
	v_add_u32_e32 v11, 0xfffffc10, v10
	v_or_b32_e32 v9, v13, v9
	v_lshl_or_b32 v10, v11, 12, v5
	v_cmp_gt_i32_e32 vcc, 1, v11
	v_cndmask_b32_e32 v9, v10, v9, vcc
	v_and_b32_e32 v10, 7, v9
	v_cmp_lt_i32_e32 vcc, 5, v10
	v_cmp_eq_u32_e64 s[2:3], 3, v10
	v_lshrrev_b32_e32 v9, 2, v9
	s_or_b64 vcc, s[2:3], vcc
	v_addc_co_u32_e32 v9, vcc, 0, v9, vcc
	v_cmp_gt_i32_e32 vcc, 31, v11
	v_lshrrev_b32_e32 v14, 16, v6
	v_cndmask_b32_e32 v13, v2, v9, vcc
	v_mul_f16_sdwa v9, v68, v14 dst_sel:DWORD dst_unused:UNUSED_PAD src0_sel:WORD_1 src1_sel:DWORD
	v_fma_f16 v9, v68, v6, v9
	v_cvt_f32_f16_e32 v9, v9
	v_cmp_ne_u32_e32 vcc, 0, v5
	v_cndmask_b32_e64 v5, 0, 1, vcc
	v_lshl_or_b32 v5, v5, 9, v2
	v_cvt_f64_f32_e32 v[9:10], v9
	v_cmp_eq_u32_e32 vcc, s15, v11
	v_cndmask_b32_e32 v5, v13, v5, vcc
	v_lshrrev_b32_e32 v11, 16, v12
	v_mul_f64 v[9:10], v[9:10], s[6:7]
	v_and_or_b32 v5, v11, s16, v5
	v_and_b32_e32 v3, 0xffff, v3
	v_add_co_u32_e32 v7, vcc, s8, v7
	v_lshl_or_b32 v3, v5, 16, v3
	v_addc_co_u32_e32 v8, vcc, v8, v4, vcc
	global_store_dword v[7:8], v3, off
	v_and_or_b32 v3, v10, s17, v9
	v_cmp_ne_u32_e32 vcc, 0, v3
	v_cndmask_b32_e64 v3, 0, 1, vcc
	v_lshrrev_b32_e32 v5, 8, v10
	v_bfe_u32 v9, v10, 20, 11
	v_and_or_b32 v3, v5, s14, v3
	v_sub_u32_e32 v11, 0x3f1, v9
	v_or_b32_e32 v5, 0x1000, v3
	v_med3_i32 v11, v11, 0, 13
	v_lshrrev_b32_e32 v12, v11, v5
	v_lshlrev_b32_e32 v11, v11, v12
	v_mul_f16_sdwa v6, v68, v6 dst_sel:DWORD dst_unused:UNUSED_PAD src0_sel:WORD_1 src1_sel:DWORD
	v_cmp_ne_u32_e32 vcc, v11, v5
	v_fma_f16 v6, v68, v14, -v6
	v_cndmask_b32_e64 v5, 0, 1, vcc
	v_add_u32_e32 v9, 0xfffffc10, v9
	v_cvt_f32_f16_e32 v6, v6
	v_or_b32_e32 v5, v12, v5
	v_lshl_or_b32 v11, v9, 12, v3
	v_cmp_gt_i32_e32 vcc, 1, v9
	v_cndmask_b32_e32 v5, v11, v5, vcc
	v_and_b32_e32 v11, 7, v5
	v_cmp_lt_i32_e32 vcc, 5, v11
	v_cmp_eq_u32_e64 s[2:3], 3, v11
	v_lshrrev_b32_e32 v11, 2, v5
	v_cvt_f64_f32_e32 v[5:6], v6
	s_or_b64 vcc, s[2:3], vcc
	v_addc_co_u32_e32 v11, vcc, 0, v11, vcc
	v_mul_f64 v[5:6], v[5:6], s[6:7]
	v_cmp_gt_i32_e32 vcc, 31, v9
	v_cndmask_b32_e32 v11, v2, v11, vcc
	v_cmp_ne_u32_e32 vcc, 0, v3
	v_cndmask_b32_e64 v3, 0, 1, vcc
	v_lshl_or_b32 v3, v3, 9, v2
	v_cmp_eq_u32_e32 vcc, s15, v9
	v_cndmask_b32_e32 v3, v11, v3, vcc
	v_lshrrev_b32_e32 v9, 16, v10
	v_and_or_b32 v13, v9, s16, v3
	v_and_or_b32 v3, v6, s17, v5
	v_cmp_ne_u32_e32 vcc, 0, v3
	v_cndmask_b32_e64 v3, 0, 1, vcc
	v_lshrrev_b32_e32 v5, 8, v6
	v_bfe_u32 v9, v6, 20, 11
	v_and_or_b32 v5, v5, s14, v3
	v_sub_u32_e32 v10, 0x3f1, v9
	v_or_b32_e32 v3, 0x1000, v5
	v_med3_i32 v10, v10, 0, 13
	v_lshrrev_b32_e32 v11, v10, v3
	v_lshlrev_b32_e32 v10, v10, v11
	v_cmp_ne_u32_e32 vcc, v10, v3
	v_cndmask_b32_e64 v3, 0, 1, vcc
	v_add_u32_e32 v14, 0xfffffc10, v9
	v_or_b32_e32 v3, v11, v3
	v_lshl_or_b32 v9, v14, 12, v5
	v_cmp_gt_i32_e32 vcc, 1, v14
	v_cndmask_b32_e32 v3, v9, v3, vcc
	v_and_b32_e32 v9, 7, v3
	v_lshrrev_b32_e32 v11, 2, v3
	v_add_u32_e32 v3, 0x1200, v64
	v_cmp_lt_i32_e32 vcc, 5, v9
	v_cmp_eq_u32_e64 s[2:3], 3, v9
	ds_read2_b32 v[9:10], v3 offset1:144
	s_or_b64 vcc, s[2:3], vcc
	v_addc_co_u32_e32 v11, vcc, 0, v11, vcc
	v_cmp_gt_i32_e32 vcc, 31, v14
	s_waitcnt lgkmcnt(0)
	v_lshrrev_b32_e32 v18, 16, v9
	v_cndmask_b32_e32 v17, v2, v11, vcc
	v_mul_f16_sdwa v11, v67, v18 dst_sel:DWORD dst_unused:UNUSED_PAD src0_sel:WORD_1 src1_sel:DWORD
	v_fma_f16 v11, v67, v9, v11
	v_cvt_f32_f16_e32 v11, v11
	v_cmp_ne_u32_e32 vcc, 0, v5
	v_cndmask_b32_e64 v5, 0, 1, vcc
	v_lshl_or_b32 v5, v5, 9, v2
	v_cvt_f64_f32_e32 v[11:12], v11
	v_cmp_eq_u32_e32 vcc, s15, v14
	v_cndmask_b32_e32 v5, v17, v5, vcc
	v_lshrrev_b32_e32 v6, 16, v6
	v_and_or_b32 v14, v6, s16, v5
	v_mul_f64 v[5:6], v[11:12], s[6:7]
	v_add_co_u32_e32 v7, vcc, s8, v7
	v_addc_co_u32_e32 v8, vcc, v8, v4, vcc
	v_and_b32_e32 v11, 0xffff, v13
	v_lshl_or_b32 v11, v14, 16, v11
	global_store_dword v[7:8], v11, off
	v_and_or_b32 v4, v6, s17, v5
	v_cmp_ne_u32_e32 vcc, 0, v4
	v_cndmask_b32_e64 v4, 0, 1, vcc
	v_lshrrev_b32_e32 v5, 8, v6
	v_and_or_b32 v11, v5, s14, v4
	v_bfe_u32 v5, v6, 20, 11
	v_sub_u32_e32 v12, 0x3f1, v5
	v_or_b32_e32 v4, 0x1000, v11
	v_med3_i32 v12, v12, 0, 13
	v_lshrrev_b32_e32 v13, v12, v4
	v_lshlrev_b32_e32 v12, v12, v13
	v_mul_f16_sdwa v9, v67, v9 dst_sel:DWORD dst_unused:UNUSED_PAD src0_sel:WORD_1 src1_sel:DWORD
	v_cmp_ne_u32_e32 vcc, v12, v4
	v_fma_f16 v9, v67, v18, -v9
	v_cndmask_b32_e64 v4, 0, 1, vcc
	v_add_u32_e32 v12, 0xfffffc10, v5
	v_cvt_f32_f16_e32 v9, v9
	v_or_b32_e32 v4, v13, v4
	v_lshl_or_b32 v5, v12, 12, v11
	v_cmp_gt_i32_e32 vcc, 1, v12
	v_cndmask_b32_e32 v4, v5, v4, vcc
	v_and_b32_e32 v5, 7, v4
	v_cmp_lt_i32_e32 vcc, 5, v5
	v_cmp_eq_u32_e64 s[2:3], 3, v5
	v_lshrrev_b32_e32 v13, 2, v4
	v_cvt_f64_f32_e32 v[4:5], v9
	s_or_b64 vcc, s[2:3], vcc
	v_addc_co_u32_e32 v9, vcc, 0, v13, vcc
	v_mul_f64 v[4:5], v[4:5], s[6:7]
	v_cmp_gt_i32_e32 vcc, 31, v12
	v_cndmask_b32_e32 v9, v2, v9, vcc
	v_cmp_ne_u32_e32 vcc, 0, v11
	v_cndmask_b32_e64 v11, 0, 1, vcc
	v_lshl_or_b32 v11, v11, 9, v2
	v_cmp_eq_u32_e32 vcc, s15, v12
	v_cndmask_b32_e32 v9, v9, v11, vcc
	v_and_or_b32 v4, v5, s17, v4
	v_lshrrev_b32_e32 v6, 16, v6
	v_cmp_ne_u32_e32 vcc, 0, v4
	v_and_or_b32 v6, v6, s16, v9
	v_cndmask_b32_e64 v4, 0, 1, vcc
	v_lshrrev_b32_e32 v9, 8, v5
	v_bfe_u32 v11, v5, 20, 11
	v_and_or_b32 v4, v9, s14, v4
	v_sub_u32_e32 v12, 0x3f1, v11
	v_or_b32_e32 v9, 0x1000, v4
	v_med3_i32 v12, v12, 0, 13
	v_lshrrev_b32_e32 v13, v12, v9
	v_lshlrev_b32_e32 v12, v12, v13
	v_cmp_ne_u32_e32 vcc, v12, v9
	v_cndmask_b32_e64 v9, 0, 1, vcc
	v_or_b32_e32 v9, v13, v9
	v_add_u32_e32 v13, 0xfffffc10, v11
	v_lshl_or_b32 v11, v13, 12, v4
	v_cmp_gt_i32_e32 vcc, 1, v13
	v_cndmask_b32_e32 v9, v11, v9, vcc
	v_and_b32_e32 v11, 7, v9
	v_cmp_lt_i32_e32 vcc, 5, v11
	v_cmp_eq_u32_e64 s[2:3], 3, v11
	v_lshrrev_b32_e32 v9, 2, v9
	s_or_b64 vcc, s[2:3], vcc
	v_addc_co_u32_e32 v9, vcc, 0, v9, vcc
	v_cmp_gt_i32_e32 vcc, 31, v13
	v_mad_u64_u32 v[11:12], s[2:3], s12, v66, 0
	v_cndmask_b32_e32 v9, v2, v9, vcc
	v_cmp_ne_u32_e32 vcc, 0, v4
	v_cndmask_b32_e64 v4, 0, 1, vcc
	v_lshl_or_b32 v4, v4, 9, v2
	v_cmp_eq_u32_e32 vcc, s15, v13
	v_lshrrev_b32_e32 v14, 16, v10
	v_cndmask_b32_e32 v9, v9, v4, vcc
	v_mov_b32_e32 v4, v12
	v_mul_f16_sdwa v12, v65, v14 dst_sel:DWORD dst_unused:UNUSED_PAD src0_sel:WORD_1 src1_sel:DWORD
	v_fma_f16 v12, v65, v10, v12
	v_cvt_f32_f16_e32 v17, v12
	v_mad_u64_u32 v[12:13], s[2:3], s13, v66, v[4:5]
	v_lshrrev_b32_e32 v13, 16, v5
	v_cvt_f64_f32_e32 v[4:5], v17
	v_lshlrev_b64 v[11:12], 2, v[11:12]
	v_and_or_b32 v9, v13, s16, v9
	v_and_b32_e32 v6, 0xffff, v6
	v_mul_f64 v[4:5], v[4:5], s[6:7]
	v_add_co_u32_e32 v0, vcc, v0, v11
	v_lshl_or_b32 v6, v9, 16, v6
	v_addc_co_u32_e32 v1, vcc, v1, v12, vcc
	global_store_dword v[0:1], v6, off
	v_and_or_b32 v0, v5, s17, v4
	v_cmp_ne_u32_e32 vcc, 0, v0
	v_cndmask_b32_e64 v0, 0, 1, vcc
	v_lshrrev_b32_e32 v1, 8, v5
	v_and_or_b32 v4, v1, s14, v0
	v_bfe_u32 v1, v5, 20, 11
	v_sub_u32_e32 v6, 0x3f1, v1
	v_or_b32_e32 v0, 0x1000, v4
	v_med3_i32 v6, v6, 0, 13
	v_lshrrev_b32_e32 v9, v6, v0
	v_lshlrev_b32_e32 v6, v6, v9
	v_cmp_ne_u32_e32 vcc, v6, v0
	v_cndmask_b32_e64 v0, 0, 1, vcc
	v_or_b32_e32 v0, v9, v0
	v_mul_f16_sdwa v9, v65, v10 dst_sel:DWORD dst_unused:UNUSED_PAD src0_sel:WORD_1 src1_sel:DWORD
	v_fma_f16 v9, v65, v14, -v9
	v_add_u32_e32 v6, 0xfffffc10, v1
	v_cvt_f32_f16_e32 v9, v9
	v_lshl_or_b32 v1, v6, 12, v4
	v_cmp_gt_i32_e32 vcc, 1, v6
	v_cndmask_b32_e32 v0, v1, v0, vcc
	v_and_b32_e32 v1, 7, v0
	v_cmp_lt_i32_e32 vcc, 5, v1
	v_cmp_eq_u32_e64 s[2:3], 3, v1
	v_lshrrev_b32_e32 v10, 2, v0
	v_cvt_f64_f32_e32 v[0:1], v9
	s_or_b64 vcc, s[2:3], vcc
	v_addc_co_u32_e32 v9, vcc, 0, v10, vcc
	v_mul_f64 v[0:1], v[0:1], s[6:7]
	v_cmp_gt_i32_e32 vcc, 31, v6
	v_cndmask_b32_e32 v9, v2, v9, vcc
	v_cmp_ne_u32_e32 vcc, 0, v4
	v_cndmask_b32_e64 v4, 0, 1, vcc
	v_lshl_or_b32 v4, v4, 9, v2
	v_cmp_eq_u32_e32 vcc, s15, v6
	v_cndmask_b32_e32 v4, v9, v4, vcc
	v_and_or_b32 v0, v1, s17, v0
	v_lshrrev_b32_e32 v5, 16, v5
	v_cmp_ne_u32_e32 vcc, 0, v0
	v_and_or_b32 v4, v5, s16, v4
	v_cndmask_b32_e64 v0, 0, 1, vcc
	v_lshrrev_b32_e32 v5, 8, v1
	v_bfe_u32 v6, v1, 20, 11
	v_and_or_b32 v0, v5, s14, v0
	v_sub_u32_e32 v9, 0x3f1, v6
	v_or_b32_e32 v5, 0x1000, v0
	v_med3_i32 v9, v9, 0, 13
	v_lshrrev_b32_e32 v10, v9, v5
	v_lshlrev_b32_e32 v9, v9, v10
	v_cmp_ne_u32_e32 vcc, v9, v5
	v_cndmask_b32_e64 v5, 0, 1, vcc
	v_add_u32_e32 v6, 0xfffffc10, v6
	v_or_b32_e32 v5, v10, v5
	v_lshl_or_b32 v9, v6, 12, v0
	v_cmp_gt_i32_e32 vcc, 1, v6
	v_cndmask_b32_e32 v5, v9, v5, vcc
	v_and_b32_e32 v9, 7, v5
	v_cmp_lt_i32_e32 vcc, 5, v9
	v_cmp_eq_u32_e64 s[2:3], 3, v9
	v_lshrrev_b32_e32 v5, 2, v5
	s_or_b64 vcc, s[2:3], vcc
	v_addc_co_u32_e32 v5, vcc, 0, v5, vcc
	v_cmp_gt_i32_e32 vcc, 31, v6
	v_cndmask_b32_e32 v5, v2, v5, vcc
	v_cmp_ne_u32_e32 vcc, 0, v0
	v_cndmask_b32_e64 v0, 0, 1, vcc
	v_lshl_or_b32 v0, v0, 9, v2
	v_cmp_eq_u32_e32 vcc, s15, v6
	v_cndmask_b32_e32 v0, v5, v0, vcc
	v_lshrrev_b32_e32 v1, 16, v1
	v_and_or_b32 v5, v1, s16, v0
	v_mov_b32_e32 v0, 0x480
	v_mad_u64_u32 v[0:1], s[2:3], s12, v0, v[7:8]
	v_and_b32_e32 v4, 0xffff, v4
	s_mul_i32 s2, s13, 0x480
	v_lshl_or_b32 v4, v5, 16, v4
	v_add_u32_e32 v1, s2, v1
	global_store_dword v[0:1], v4, off
	s_and_b64 exec, exec, s[0:1]
	s_cbranch_execz .LBB0_31
; %bb.30:
	global_load_dword v6, v[15:16], off offset:360
	ds_read2_b32 v[4:5], v64 offset0:90 offset1:234
	s_waitcnt lgkmcnt(0)
	v_lshrrev_b32_e32 v7, 16, v4
	s_waitcnt vmcnt(0)
	v_mul_f16_sdwa v8, v7, v6 dst_sel:DWORD dst_unused:UNUSED_PAD src0_sel:DWORD src1_sel:WORD_1
	v_fma_f16 v8, v4, v6, v8
	v_mul_f16_sdwa v4, v4, v6 dst_sel:DWORD dst_unused:UNUSED_PAD src0_sel:DWORD src1_sel:WORD_1
	v_cvt_f32_f16_e32 v8, v8
	v_fma_f16 v4, v6, v7, -v4
	v_cvt_f32_f16_e32 v4, v4
	v_cvt_f64_f32_e32 v[6:7], v8
	v_cvt_f64_f32_e32 v[8:9], v4
	v_mov_b32_e32 v4, 0xffffed28
	v_mul_f64 v[6:7], v[6:7], s[6:7]
	v_mad_u64_u32 v[10:11], s[0:1], s12, v4, v[0:1]
	v_mul_f64 v[0:1], v[8:9], s[6:7]
	s_mul_i32 s0, s13, 0xffffed28
	s_sub_i32 s0, s0, s12
	v_add_u32_e32 v11, s0, v11
	v_and_or_b32 v4, v7, s17, v6
	v_cmp_ne_u32_e32 vcc, 0, v4
	v_lshrrev_b32_e32 v6, 8, v7
	v_and_or_b32 v0, v1, s17, v0
	v_bfe_u32 v8, v7, 20, 11
	v_cndmask_b32_e64 v4, 0, 1, vcc
	v_cmp_ne_u32_e32 vcc, 0, v0
	v_lshrrev_b32_e32 v9, 8, v1
	v_bfe_u32 v12, v1, 20, 11
	v_sub_u32_e32 v13, 0x3f1, v8
	v_cndmask_b32_e64 v0, 0, 1, vcc
	v_and_or_b32 v4, v6, s14, v4
	v_sub_u32_e32 v14, 0x3f1, v12
	v_med3_i32 v6, v13, 0, 13
	v_and_or_b32 v0, v9, s14, v0
	v_or_b32_e32 v13, 0x1000, v4
	v_add_u32_e32 v8, 0xfffffc10, v8
	v_med3_i32 v9, v14, 0, 13
	v_cmp_ne_u32_e32 vcc, 0, v4
	v_or_b32_e32 v17, 0x1000, v0
	v_lshrrev_b32_e32 v19, v6, v13
	v_add_u32_e32 v12, 0xfffffc10, v12
	v_lshl_or_b32 v14, v8, 12, v4
	v_cndmask_b32_e64 v4, 0, 1, vcc
	v_cmp_ne_u32_e32 vcc, 0, v0
	v_lshrrev_b32_e32 v20, v9, v17
	v_lshlrev_b32_e32 v6, v6, v19
	v_lshl_or_b32 v18, v12, 12, v0
	v_cndmask_b32_e64 v0, 0, 1, vcc
	v_lshlrev_b32_e32 v9, v9, v20
	v_cmp_ne_u32_e32 vcc, v6, v13
	v_cndmask_b32_e64 v6, 0, 1, vcc
	v_cmp_ne_u32_e32 vcc, v9, v17
	v_cndmask_b32_e64 v9, 0, 1, vcc
	v_or_b32_e32 v6, v19, v6
	v_cmp_gt_i32_e32 vcc, 1, v8
	v_cndmask_b32_e32 v6, v14, v6, vcc
	v_or_b32_e32 v9, v20, v9
	v_cmp_gt_i32_e32 vcc, 1, v12
	v_and_b32_e32 v13, 7, v6
	v_cndmask_b32_e32 v9, v18, v9, vcc
	v_cmp_lt_i32_e32 vcc, 5, v13
	v_cmp_eq_u32_e64 s[0:1], 3, v13
	v_lshrrev_b32_e32 v6, 2, v6
	v_and_b32_e32 v14, 7, v9
	s_or_b64 vcc, s[0:1], vcc
	v_cmp_lt_i32_e64 s[2:3], 5, v14
	v_cmp_eq_u32_e64 s[4:5], 3, v14
	v_addc_co_u32_e32 v6, vcc, 0, v6, vcc
	v_lshrrev_b32_e32 v9, 2, v9
	s_or_b64 vcc, s[4:5], s[2:3]
	v_addc_co_u32_e32 v9, vcc, 0, v9, vcc
	v_cmp_gt_i32_e32 vcc, 31, v8
	v_cndmask_b32_e32 v6, v2, v6, vcc
	v_cmp_gt_i32_e32 vcc, 31, v12
	v_lshl_or_b32 v4, v4, 9, v2
	v_cndmask_b32_e32 v9, v2, v9, vcc
	v_cmp_eq_u32_e32 vcc, s15, v8
	v_lshrrev_b32_e32 v7, 16, v7
	v_lshl_or_b32 v0, v0, 9, v2
	v_cndmask_b32_e32 v4, v6, v4, vcc
	v_cmp_eq_u32_e32 vcc, s15, v12
	v_lshrrev_b32_e32 v1, 16, v1
	v_cndmask_b32_e32 v0, v9, v0, vcc
	v_and_or_b32 v4, v7, s16, v4
	v_and_or_b32 v0, v1, s16, v0
	v_and_b32_e32 v1, 0xffff, v4
	v_lshl_or_b32 v0, v0, 16, v1
	global_store_dword v[10:11], v0, off
	global_load_dword v0, v[15:16], off offset:936
	v_lshrrev_b32_e32 v1, 16, v5
	v_add_co_u32_e32 v8, vcc, s8, v10
	s_waitcnt vmcnt(0)
	v_mul_f16_sdwa v4, v1, v0 dst_sel:DWORD dst_unused:UNUSED_PAD src0_sel:DWORD src1_sel:WORD_1
	v_fma_f16 v4, v5, v0, v4
	v_mul_f16_sdwa v5, v5, v0 dst_sel:DWORD dst_unused:UNUSED_PAD src0_sel:DWORD src1_sel:WORD_1
	v_cvt_f32_f16_e32 v4, v4
	v_fma_f16 v0, v0, v1, -v5
	v_cvt_f32_f16_e32 v5, v0
	v_cvt_f64_f32_e32 v[0:1], v4
	v_cvt_f64_f32_e32 v[4:5], v5
	v_mul_f64 v[6:7], v[0:1], s[6:7]
	v_mov_b32_e32 v0, s9
	v_mul_f64 v[4:5], v[4:5], s[6:7]
	v_addc_co_u32_e32 v9, vcc, v11, v0, vcc
	v_and_or_b32 v1, v7, s17, v6
	v_cmp_ne_u32_e32 vcc, 0, v1
	v_and_or_b32 v4, v5, s17, v4
	v_lshrrev_b32_e32 v6, 8, v7
	v_bfe_u32 v10, v7, 20, 11
	v_cndmask_b32_e64 v1, 0, 1, vcc
	v_cmp_ne_u32_e32 vcc, 0, v4
	v_lshrrev_b32_e32 v11, 8, v5
	v_bfe_u32 v12, v5, 20, 11
	v_sub_u32_e32 v13, 0x3f1, v10
	v_cndmask_b32_e64 v4, 0, 1, vcc
	v_and_or_b32 v1, v6, s14, v1
	v_sub_u32_e32 v14, 0x3f1, v12
	v_med3_i32 v6, v13, 0, 13
	v_and_or_b32 v4, v11, s14, v4
	v_or_b32_e32 v13, 0x1000, v1
	v_add_u32_e32 v10, 0xfffffc10, v10
	v_med3_i32 v11, v14, 0, 13
	v_cmp_ne_u32_e32 vcc, 0, v1
	v_or_b32_e32 v17, 0x1000, v4
	v_lshrrev_b32_e32 v19, v6, v13
	v_add_u32_e32 v12, 0xfffffc10, v12
	v_lshl_or_b32 v14, v10, 12, v1
	v_cndmask_b32_e64 v1, 0, 1, vcc
	v_cmp_ne_u32_e32 vcc, 0, v4
	v_lshrrev_b32_e32 v20, v11, v17
	v_lshlrev_b32_e32 v6, v6, v19
	v_lshl_or_b32 v18, v12, 12, v4
	v_cndmask_b32_e64 v4, 0, 1, vcc
	v_lshlrev_b32_e32 v11, v11, v20
	v_cmp_ne_u32_e32 vcc, v6, v13
	v_cndmask_b32_e64 v6, 0, 1, vcc
	v_cmp_ne_u32_e32 vcc, v11, v17
	v_cndmask_b32_e64 v11, 0, 1, vcc
	v_or_b32_e32 v6, v19, v6
	v_cmp_gt_i32_e32 vcc, 1, v10
	v_cndmask_b32_e32 v6, v14, v6, vcc
	v_or_b32_e32 v11, v20, v11
	v_cmp_gt_i32_e32 vcc, 1, v12
	v_and_b32_e32 v13, 7, v6
	v_cndmask_b32_e32 v11, v18, v11, vcc
	v_cmp_lt_i32_e32 vcc, 5, v13
	v_cmp_eq_u32_e64 s[0:1], 3, v13
	v_lshrrev_b32_e32 v6, 2, v6
	v_and_b32_e32 v14, 7, v11
	s_or_b64 vcc, s[0:1], vcc
	v_cmp_lt_i32_e64 s[2:3], 5, v14
	v_cmp_eq_u32_e64 s[4:5], 3, v14
	v_addc_co_u32_e32 v6, vcc, 0, v6, vcc
	v_lshrrev_b32_e32 v11, 2, v11
	s_or_b64 vcc, s[4:5], s[2:3]
	v_addc_co_u32_e32 v11, vcc, 0, v11, vcc
	v_cmp_gt_i32_e32 vcc, 31, v10
	v_cndmask_b32_e32 v6, v2, v6, vcc
	v_cmp_gt_i32_e32 vcc, 31, v12
	v_lshl_or_b32 v1, v1, 9, v2
	v_cndmask_b32_e32 v11, v2, v11, vcc
	v_cmp_eq_u32_e32 vcc, s15, v10
	v_lshrrev_b32_e32 v7, 16, v7
	v_lshl_or_b32 v4, v4, 9, v2
	v_cndmask_b32_e32 v1, v6, v1, vcc
	v_cmp_eq_u32_e32 vcc, s15, v12
	v_lshrrev_b32_e32 v5, 16, v5
	v_cndmask_b32_e32 v4, v11, v4, vcc
	v_and_or_b32 v1, v7, s16, v1
	v_and_or_b32 v4, v5, s16, v4
	v_and_b32_e32 v1, 0xffff, v1
	v_lshl_or_b32 v1, v4, 16, v1
	global_store_dword v[8:9], v1, off
	global_load_dword v1, v[15:16], off offset:1512
	v_add_u32_e32 v4, 0x500, v64
	ds_read2_b32 v[4:5], v4 offset0:58 offset1:202
	v_add_co_u32_e32 v8, vcc, s8, v8
	v_addc_co_u32_e32 v9, vcc, v9, v0, vcc
	s_waitcnt lgkmcnt(0)
	v_lshrrev_b32_e32 v6, 16, v4
	s_waitcnt vmcnt(0)
	v_mul_f16_sdwa v7, v6, v1 dst_sel:DWORD dst_unused:UNUSED_PAD src0_sel:DWORD src1_sel:WORD_1
	v_fma_f16 v7, v4, v1, v7
	v_mul_f16_sdwa v4, v4, v1 dst_sel:DWORD dst_unused:UNUSED_PAD src0_sel:DWORD src1_sel:WORD_1
	v_cvt_f32_f16_e32 v7, v7
	v_fma_f16 v1, v1, v6, -v4
	v_cvt_f32_f16_e32 v1, v1
	v_cvt_f64_f32_e32 v[6:7], v7
	v_cvt_f64_f32_e32 v[10:11], v1
	v_mul_f64 v[6:7], v[6:7], s[6:7]
	v_mul_f64 v[10:11], v[10:11], s[6:7]
	v_and_or_b32 v1, v7, s17, v6
	v_cmp_ne_u32_e32 vcc, 0, v1
	v_and_or_b32 v10, v11, s17, v10
	v_lshrrev_b32_e32 v4, 8, v7
	v_bfe_u32 v6, v7, 20, 11
	v_cndmask_b32_e64 v1, 0, 1, vcc
	v_cmp_ne_u32_e32 vcc, 0, v10
	v_lshrrev_b32_e32 v12, 8, v11
	v_bfe_u32 v13, v11, 20, 11
	v_sub_u32_e32 v14, 0x3f1, v6
	v_cndmask_b32_e64 v10, 0, 1, vcc
	v_and_or_b32 v1, v4, s14, v1
	v_sub_u32_e32 v17, 0x3f1, v13
	v_med3_i32 v4, v14, 0, 13
	v_and_or_b32 v10, v12, s14, v10
	v_or_b32_e32 v14, 0x1000, v1
	v_add_u32_e32 v6, 0xfffffc10, v6
	v_med3_i32 v12, v17, 0, 13
	v_cmp_ne_u32_e32 vcc, 0, v1
	v_or_b32_e32 v18, 0x1000, v10
	v_lshrrev_b32_e32 v20, v4, v14
	v_add_u32_e32 v13, 0xfffffc10, v13
	v_lshl_or_b32 v17, v6, 12, v1
	v_cndmask_b32_e64 v1, 0, 1, vcc
	v_cmp_ne_u32_e32 vcc, 0, v10
	v_lshrrev_b32_e32 v21, v12, v18
	v_lshlrev_b32_e32 v4, v4, v20
	v_lshl_or_b32 v19, v13, 12, v10
	v_cndmask_b32_e64 v10, 0, 1, vcc
	v_lshlrev_b32_e32 v12, v12, v21
	v_cmp_ne_u32_e32 vcc, v4, v14
	v_cndmask_b32_e64 v4, 0, 1, vcc
	v_cmp_ne_u32_e32 vcc, v12, v18
	v_cndmask_b32_e64 v12, 0, 1, vcc
	v_or_b32_e32 v4, v20, v4
	v_cmp_gt_i32_e32 vcc, 1, v6
	v_cndmask_b32_e32 v4, v17, v4, vcc
	v_or_b32_e32 v12, v21, v12
	v_cmp_gt_i32_e32 vcc, 1, v13
	v_and_b32_e32 v14, 7, v4
	v_cndmask_b32_e32 v12, v19, v12, vcc
	v_cmp_lt_i32_e32 vcc, 5, v14
	v_cmp_eq_u32_e64 s[0:1], 3, v14
	v_lshrrev_b32_e32 v4, 2, v4
	v_and_b32_e32 v17, 7, v12
	s_or_b64 vcc, s[0:1], vcc
	v_cmp_lt_i32_e64 s[2:3], 5, v17
	v_cmp_eq_u32_e64 s[4:5], 3, v17
	v_addc_co_u32_e32 v4, vcc, 0, v4, vcc
	v_lshrrev_b32_e32 v12, 2, v12
	s_or_b64 vcc, s[4:5], s[2:3]
	v_addc_co_u32_e32 v12, vcc, 0, v12, vcc
	v_cmp_gt_i32_e32 vcc, 31, v6
	v_cndmask_b32_e32 v4, v2, v4, vcc
	v_cmp_gt_i32_e32 vcc, 31, v13
	v_lshl_or_b32 v1, v1, 9, v2
	v_cndmask_b32_e32 v12, v2, v12, vcc
	v_cmp_eq_u32_e32 vcc, s15, v6
	v_lshrrev_b32_e32 v7, 16, v7
	v_lshl_or_b32 v10, v10, 9, v2
	v_cndmask_b32_e32 v1, v4, v1, vcc
	v_cmp_eq_u32_e32 vcc, s15, v13
	v_lshrrev_b32_e32 v11, 16, v11
	v_cndmask_b32_e32 v4, v12, v10, vcc
	v_and_or_b32 v1, v7, s16, v1
	v_and_or_b32 v4, v11, s16, v4
	v_and_b32_e32 v1, 0xffff, v1
	v_lshl_or_b32 v1, v4, 16, v1
	global_store_dword v[8:9], v1, off
	global_load_dword v1, v[15:16], off offset:2088
	v_lshrrev_b32_e32 v4, 16, v5
	v_add_co_u32_e32 v8, vcc, s8, v8
	v_addc_co_u32_e32 v9, vcc, v9, v0, vcc
	s_waitcnt vmcnt(0)
	v_mul_f16_sdwa v6, v4, v1 dst_sel:DWORD dst_unused:UNUSED_PAD src0_sel:DWORD src1_sel:WORD_1
	v_fma_f16 v6, v5, v1, v6
	v_mul_f16_sdwa v5, v5, v1 dst_sel:DWORD dst_unused:UNUSED_PAD src0_sel:DWORD src1_sel:WORD_1
	v_cvt_f32_f16_e32 v6, v6
	v_fma_f16 v1, v1, v4, -v5
	v_cvt_f32_f16_e32 v1, v1
	v_cvt_f64_f32_e32 v[4:5], v6
	v_cvt_f64_f32_e32 v[6:7], v1
	v_mul_f64 v[4:5], v[4:5], s[6:7]
	v_mul_f64 v[6:7], v[6:7], s[6:7]
	v_and_or_b32 v1, v5, s17, v4
	v_cmp_ne_u32_e32 vcc, 0, v1
	v_and_or_b32 v6, v7, s17, v6
	v_lshrrev_b32_e32 v4, 8, v5
	v_bfe_u32 v10, v5, 20, 11
	v_cndmask_b32_e64 v1, 0, 1, vcc
	v_cmp_ne_u32_e32 vcc, 0, v6
	v_lshrrev_b32_e32 v11, 8, v7
	v_bfe_u32 v12, v7, 20, 11
	v_sub_u32_e32 v13, 0x3f1, v10
	v_cndmask_b32_e64 v6, 0, 1, vcc
	v_and_or_b32 v1, v4, s14, v1
	v_sub_u32_e32 v14, 0x3f1, v12
	v_med3_i32 v4, v13, 0, 13
	v_and_or_b32 v6, v11, s14, v6
	v_or_b32_e32 v13, 0x1000, v1
	v_add_u32_e32 v10, 0xfffffc10, v10
	v_med3_i32 v11, v14, 0, 13
	v_cmp_ne_u32_e32 vcc, 0, v1
	v_or_b32_e32 v17, 0x1000, v6
	v_lshrrev_b32_e32 v19, v4, v13
	v_add_u32_e32 v12, 0xfffffc10, v12
	v_lshl_or_b32 v14, v10, 12, v1
	v_cndmask_b32_e64 v1, 0, 1, vcc
	v_cmp_ne_u32_e32 vcc, 0, v6
	v_lshrrev_b32_e32 v20, v11, v17
	v_lshlrev_b32_e32 v4, v4, v19
	v_lshl_or_b32 v18, v12, 12, v6
	v_cndmask_b32_e64 v6, 0, 1, vcc
	v_lshlrev_b32_e32 v11, v11, v20
	v_cmp_ne_u32_e32 vcc, v4, v13
	v_cndmask_b32_e64 v4, 0, 1, vcc
	v_cmp_ne_u32_e32 vcc, v11, v17
	v_cndmask_b32_e64 v11, 0, 1, vcc
	v_or_b32_e32 v4, v19, v4
	v_cmp_gt_i32_e32 vcc, 1, v10
	v_cndmask_b32_e32 v4, v14, v4, vcc
	v_or_b32_e32 v11, v20, v11
	v_cmp_gt_i32_e32 vcc, 1, v12
	v_and_b32_e32 v13, 7, v4
	v_cndmask_b32_e32 v11, v18, v11, vcc
	v_cmp_lt_i32_e32 vcc, 5, v13
	v_cmp_eq_u32_e64 s[0:1], 3, v13
	v_lshrrev_b32_e32 v4, 2, v4
	v_and_b32_e32 v14, 7, v11
	s_or_b64 vcc, s[0:1], vcc
	v_cmp_lt_i32_e64 s[2:3], 5, v14
	v_cmp_eq_u32_e64 s[4:5], 3, v14
	v_addc_co_u32_e32 v4, vcc, 0, v4, vcc
	v_lshrrev_b32_e32 v11, 2, v11
	s_or_b64 vcc, s[4:5], s[2:3]
	v_addc_co_u32_e32 v11, vcc, 0, v11, vcc
	v_cmp_gt_i32_e32 vcc, 31, v10
	v_cndmask_b32_e32 v4, v2, v4, vcc
	v_cmp_gt_i32_e32 vcc, 31, v12
	v_lshl_or_b32 v1, v1, 9, v2
	v_cndmask_b32_e32 v11, v2, v11, vcc
	v_cmp_eq_u32_e32 vcc, s15, v10
	v_lshrrev_b32_e32 v5, 16, v5
	v_lshl_or_b32 v6, v6, 9, v2
	v_cndmask_b32_e32 v1, v4, v1, vcc
	v_cmp_eq_u32_e32 vcc, s15, v12
	v_lshrrev_b32_e32 v7, 16, v7
	v_cndmask_b32_e32 v4, v11, v6, vcc
	v_and_or_b32 v1, v5, s16, v1
	v_and_or_b32 v4, v7, s16, v4
	v_and_b32_e32 v1, 0xffff, v1
	v_lshl_or_b32 v1, v4, 16, v1
	global_store_dword v[8:9], v1, off
	global_load_dword v1, v[15:16], off offset:2664
	v_add_u32_e32 v4, 0xa00, v64
	ds_read2_b32 v[4:5], v4 offset0:26 offset1:170
	v_add_co_u32_e32 v8, vcc, s8, v8
	v_addc_co_u32_e32 v9, vcc, v9, v0, vcc
	s_waitcnt lgkmcnt(0)
	v_lshrrev_b32_e32 v6, 16, v4
	s_waitcnt vmcnt(0)
	v_mul_f16_sdwa v7, v6, v1 dst_sel:DWORD dst_unused:UNUSED_PAD src0_sel:DWORD src1_sel:WORD_1
	v_fma_f16 v7, v4, v1, v7
	v_mul_f16_sdwa v4, v4, v1 dst_sel:DWORD dst_unused:UNUSED_PAD src0_sel:DWORD src1_sel:WORD_1
	v_cvt_f32_f16_e32 v7, v7
	v_fma_f16 v1, v1, v6, -v4
	v_cvt_f32_f16_e32 v1, v1
	v_cvt_f64_f32_e32 v[6:7], v7
	v_cvt_f64_f32_e32 v[10:11], v1
	v_mul_f64 v[6:7], v[6:7], s[6:7]
	v_mul_f64 v[10:11], v[10:11], s[6:7]
	v_and_or_b32 v1, v7, s17, v6
	v_cmp_ne_u32_e32 vcc, 0, v1
	v_and_or_b32 v10, v11, s17, v10
	v_lshrrev_b32_e32 v4, 8, v7
	v_bfe_u32 v6, v7, 20, 11
	v_cndmask_b32_e64 v1, 0, 1, vcc
	v_cmp_ne_u32_e32 vcc, 0, v10
	v_lshrrev_b32_e32 v12, 8, v11
	v_bfe_u32 v13, v11, 20, 11
	v_sub_u32_e32 v14, 0x3f1, v6
	v_cndmask_b32_e64 v10, 0, 1, vcc
	v_and_or_b32 v1, v4, s14, v1
	v_sub_u32_e32 v17, 0x3f1, v13
	v_med3_i32 v4, v14, 0, 13
	v_and_or_b32 v10, v12, s14, v10
	v_or_b32_e32 v14, 0x1000, v1
	v_add_u32_e32 v6, 0xfffffc10, v6
	v_med3_i32 v12, v17, 0, 13
	v_cmp_ne_u32_e32 vcc, 0, v1
	v_or_b32_e32 v18, 0x1000, v10
	v_lshrrev_b32_e32 v20, v4, v14
	v_add_u32_e32 v13, 0xfffffc10, v13
	v_lshl_or_b32 v17, v6, 12, v1
	v_cndmask_b32_e64 v1, 0, 1, vcc
	v_cmp_ne_u32_e32 vcc, 0, v10
	v_lshrrev_b32_e32 v21, v12, v18
	v_lshlrev_b32_e32 v4, v4, v20
	v_lshl_or_b32 v19, v13, 12, v10
	v_cndmask_b32_e64 v10, 0, 1, vcc
	v_lshlrev_b32_e32 v12, v12, v21
	v_cmp_ne_u32_e32 vcc, v4, v14
	v_cndmask_b32_e64 v4, 0, 1, vcc
	v_cmp_ne_u32_e32 vcc, v12, v18
	v_cndmask_b32_e64 v12, 0, 1, vcc
	v_or_b32_e32 v4, v20, v4
	v_cmp_gt_i32_e32 vcc, 1, v6
	v_cndmask_b32_e32 v4, v17, v4, vcc
	v_or_b32_e32 v12, v21, v12
	v_cmp_gt_i32_e32 vcc, 1, v13
	v_and_b32_e32 v14, 7, v4
	v_cndmask_b32_e32 v12, v19, v12, vcc
	v_cmp_lt_i32_e32 vcc, 5, v14
	v_cmp_eq_u32_e64 s[0:1], 3, v14
	v_lshrrev_b32_e32 v4, 2, v4
	v_and_b32_e32 v17, 7, v12
	s_or_b64 vcc, s[0:1], vcc
	v_cmp_lt_i32_e64 s[2:3], 5, v17
	v_cmp_eq_u32_e64 s[4:5], 3, v17
	v_addc_co_u32_e32 v4, vcc, 0, v4, vcc
	v_lshrrev_b32_e32 v12, 2, v12
	s_or_b64 vcc, s[4:5], s[2:3]
	v_addc_co_u32_e32 v12, vcc, 0, v12, vcc
	v_cmp_gt_i32_e32 vcc, 31, v6
	v_cndmask_b32_e32 v4, v2, v4, vcc
	v_cmp_gt_i32_e32 vcc, 31, v13
	v_lshl_or_b32 v1, v1, 9, v2
	v_cndmask_b32_e32 v12, v2, v12, vcc
	v_cmp_eq_u32_e32 vcc, s15, v6
	v_lshrrev_b32_e32 v7, 16, v7
	v_lshl_or_b32 v10, v10, 9, v2
	v_cndmask_b32_e32 v1, v4, v1, vcc
	v_cmp_eq_u32_e32 vcc, s15, v13
	v_lshrrev_b32_e32 v11, 16, v11
	v_cndmask_b32_e32 v4, v12, v10, vcc
	v_and_or_b32 v1, v7, s16, v1
	v_and_or_b32 v4, v11, s16, v4
	v_and_b32_e32 v1, 0xffff, v1
	v_lshl_or_b32 v1, v4, 16, v1
	global_store_dword v[8:9], v1, off
	global_load_dword v1, v[15:16], off offset:3240
	v_lshrrev_b32_e32 v4, 16, v5
	v_add_co_u32_e32 v8, vcc, s8, v8
	v_addc_co_u32_e32 v9, vcc, v9, v0, vcc
	s_waitcnt vmcnt(0)
	v_mul_f16_sdwa v6, v4, v1 dst_sel:DWORD dst_unused:UNUSED_PAD src0_sel:DWORD src1_sel:WORD_1
	v_fma_f16 v6, v5, v1, v6
	v_mul_f16_sdwa v5, v5, v1 dst_sel:DWORD dst_unused:UNUSED_PAD src0_sel:DWORD src1_sel:WORD_1
	v_cvt_f32_f16_e32 v6, v6
	v_fma_f16 v1, v1, v4, -v5
	v_cvt_f32_f16_e32 v1, v1
	v_cvt_f64_f32_e32 v[4:5], v6
	v_cvt_f64_f32_e32 v[6:7], v1
	v_mul_f64 v[4:5], v[4:5], s[6:7]
	v_mul_f64 v[6:7], v[6:7], s[6:7]
	v_and_or_b32 v1, v5, s17, v4
	v_cmp_ne_u32_e32 vcc, 0, v1
	v_and_or_b32 v6, v7, s17, v6
	v_lshrrev_b32_e32 v4, 8, v5
	v_bfe_u32 v10, v5, 20, 11
	v_cndmask_b32_e64 v1, 0, 1, vcc
	v_cmp_ne_u32_e32 vcc, 0, v6
	v_lshrrev_b32_e32 v11, 8, v7
	v_bfe_u32 v12, v7, 20, 11
	v_sub_u32_e32 v13, 0x3f1, v10
	v_cndmask_b32_e64 v6, 0, 1, vcc
	v_and_or_b32 v1, v4, s14, v1
	v_sub_u32_e32 v14, 0x3f1, v12
	v_med3_i32 v4, v13, 0, 13
	v_and_or_b32 v6, v11, s14, v6
	v_or_b32_e32 v13, 0x1000, v1
	v_add_u32_e32 v10, 0xfffffc10, v10
	v_med3_i32 v11, v14, 0, 13
	v_cmp_ne_u32_e32 vcc, 0, v1
	v_or_b32_e32 v17, 0x1000, v6
	v_lshrrev_b32_e32 v19, v4, v13
	v_add_u32_e32 v12, 0xfffffc10, v12
	v_lshl_or_b32 v14, v10, 12, v1
	v_cndmask_b32_e64 v1, 0, 1, vcc
	v_cmp_ne_u32_e32 vcc, 0, v6
	v_lshrrev_b32_e32 v20, v11, v17
	v_lshlrev_b32_e32 v4, v4, v19
	v_lshl_or_b32 v18, v12, 12, v6
	v_cndmask_b32_e64 v6, 0, 1, vcc
	v_lshlrev_b32_e32 v11, v11, v20
	v_cmp_ne_u32_e32 vcc, v4, v13
	v_cndmask_b32_e64 v4, 0, 1, vcc
	v_cmp_ne_u32_e32 vcc, v11, v17
	v_cndmask_b32_e64 v11, 0, 1, vcc
	v_or_b32_e32 v4, v19, v4
	v_cmp_gt_i32_e32 vcc, 1, v10
	v_cndmask_b32_e32 v4, v14, v4, vcc
	v_or_b32_e32 v11, v20, v11
	v_cmp_gt_i32_e32 vcc, 1, v12
	v_and_b32_e32 v13, 7, v4
	v_cndmask_b32_e32 v11, v18, v11, vcc
	v_cmp_lt_i32_e32 vcc, 5, v13
	v_cmp_eq_u32_e64 s[0:1], 3, v13
	v_lshrrev_b32_e32 v4, 2, v4
	v_and_b32_e32 v14, 7, v11
	s_or_b64 vcc, s[0:1], vcc
	v_cmp_lt_i32_e64 s[2:3], 5, v14
	v_cmp_eq_u32_e64 s[4:5], 3, v14
	v_addc_co_u32_e32 v4, vcc, 0, v4, vcc
	v_lshrrev_b32_e32 v11, 2, v11
	s_or_b64 vcc, s[4:5], s[2:3]
	v_addc_co_u32_e32 v11, vcc, 0, v11, vcc
	v_cmp_gt_i32_e32 vcc, 31, v10
	v_cndmask_b32_e32 v4, v2, v4, vcc
	v_cmp_gt_i32_e32 vcc, 31, v12
	v_lshl_or_b32 v1, v1, 9, v2
	v_cndmask_b32_e32 v11, v2, v11, vcc
	v_cmp_eq_u32_e32 vcc, s15, v10
	v_lshrrev_b32_e32 v5, 16, v5
	v_lshl_or_b32 v6, v6, 9, v2
	v_cndmask_b32_e32 v1, v4, v1, vcc
	v_cmp_eq_u32_e32 vcc, s15, v12
	v_lshrrev_b32_e32 v7, 16, v7
	v_cndmask_b32_e32 v4, v11, v6, vcc
	v_and_or_b32 v1, v5, s16, v1
	v_and_or_b32 v4, v7, s16, v4
	v_and_b32_e32 v1, 0xffff, v1
	v_lshl_or_b32 v1, v4, 16, v1
	global_store_dword v[8:9], v1, off
	global_load_dword v1, v[15:16], off offset:3816
	v_add_u32_e32 v4, 0xe00, v64
	ds_read2_b32 v[4:5], v4 offset0:58 offset1:202
	v_add_co_u32_e32 v12, vcc, s18, v15
	v_addc_co_u32_e32 v13, vcc, 0, v16, vcc
	s_waitcnt lgkmcnt(0)
	v_lshrrev_b32_e32 v6, 16, v4
	v_add_co_u32_e32 v8, vcc, s8, v8
	v_addc_co_u32_e32 v9, vcc, v9, v0, vcc
	s_waitcnt vmcnt(0)
	v_mul_f16_sdwa v7, v6, v1 dst_sel:DWORD dst_unused:UNUSED_PAD src0_sel:DWORD src1_sel:WORD_1
	v_fma_f16 v7, v4, v1, v7
	v_mul_f16_sdwa v4, v4, v1 dst_sel:DWORD dst_unused:UNUSED_PAD src0_sel:DWORD src1_sel:WORD_1
	v_cvt_f32_f16_e32 v7, v7
	v_fma_f16 v1, v1, v6, -v4
	v_cvt_f32_f16_e32 v1, v1
	v_cvt_f64_f32_e32 v[6:7], v7
	v_cvt_f64_f32_e32 v[10:11], v1
	v_mul_f64 v[6:7], v[6:7], s[6:7]
	v_mul_f64 v[10:11], v[10:11], s[6:7]
	v_and_or_b32 v1, v7, s17, v6
	v_cmp_ne_u32_e32 vcc, 0, v1
	v_and_or_b32 v10, v11, s17, v10
	v_lshrrev_b32_e32 v4, 8, v7
	v_bfe_u32 v6, v7, 20, 11
	v_cndmask_b32_e64 v1, 0, 1, vcc
	v_cmp_ne_u32_e32 vcc, 0, v10
	v_lshrrev_b32_e32 v14, 8, v11
	v_bfe_u32 v15, v11, 20, 11
	v_sub_u32_e32 v16, 0x3f1, v6
	v_cndmask_b32_e64 v10, 0, 1, vcc
	v_and_or_b32 v1, v4, s14, v1
	v_sub_u32_e32 v17, 0x3f1, v15
	v_med3_i32 v4, v16, 0, 13
	v_and_or_b32 v10, v14, s14, v10
	v_or_b32_e32 v16, 0x1000, v1
	v_add_u32_e32 v6, 0xfffffc10, v6
	v_med3_i32 v14, v17, 0, 13
	v_cmp_ne_u32_e32 vcc, 0, v1
	v_or_b32_e32 v18, 0x1000, v10
	v_lshrrev_b32_e32 v20, v4, v16
	v_add_u32_e32 v15, 0xfffffc10, v15
	v_lshl_or_b32 v17, v6, 12, v1
	v_cndmask_b32_e64 v1, 0, 1, vcc
	v_cmp_ne_u32_e32 vcc, 0, v10
	v_lshrrev_b32_e32 v21, v14, v18
	v_lshlrev_b32_e32 v4, v4, v20
	v_lshl_or_b32 v19, v15, 12, v10
	v_cndmask_b32_e64 v10, 0, 1, vcc
	v_lshlrev_b32_e32 v14, v14, v21
	v_cmp_ne_u32_e32 vcc, v4, v16
	v_cndmask_b32_e64 v4, 0, 1, vcc
	v_cmp_ne_u32_e32 vcc, v14, v18
	v_cndmask_b32_e64 v14, 0, 1, vcc
	v_or_b32_e32 v4, v20, v4
	v_cmp_gt_i32_e32 vcc, 1, v6
	v_cndmask_b32_e32 v4, v17, v4, vcc
	v_or_b32_e32 v14, v21, v14
	v_cmp_gt_i32_e32 vcc, 1, v15
	v_and_b32_e32 v16, 7, v4
	v_cndmask_b32_e32 v14, v19, v14, vcc
	v_cmp_lt_i32_e32 vcc, 5, v16
	v_cmp_eq_u32_e64 s[0:1], 3, v16
	v_lshrrev_b32_e32 v4, 2, v4
	v_and_b32_e32 v17, 7, v14
	s_or_b64 vcc, s[0:1], vcc
	v_cmp_lt_i32_e64 s[2:3], 5, v17
	v_cmp_eq_u32_e64 s[4:5], 3, v17
	v_addc_co_u32_e32 v4, vcc, 0, v4, vcc
	v_lshrrev_b32_e32 v14, 2, v14
	s_or_b64 vcc, s[4:5], s[2:3]
	v_addc_co_u32_e32 v14, vcc, 0, v14, vcc
	v_cmp_gt_i32_e32 vcc, 31, v6
	v_cndmask_b32_e32 v4, v2, v4, vcc
	v_cmp_gt_i32_e32 vcc, 31, v15
	v_lshl_or_b32 v1, v1, 9, v2
	v_cndmask_b32_e32 v14, v2, v14, vcc
	v_cmp_eq_u32_e32 vcc, s15, v6
	v_lshrrev_b32_e32 v7, 16, v7
	v_lshl_or_b32 v10, v10, 9, v2
	v_cndmask_b32_e32 v1, v4, v1, vcc
	v_cmp_eq_u32_e32 vcc, s15, v15
	v_lshrrev_b32_e32 v11, 16, v11
	v_cndmask_b32_e32 v4, v14, v10, vcc
	v_and_or_b32 v1, v7, s16, v1
	v_and_or_b32 v4, v11, s16, v4
	v_and_b32_e32 v1, 0xffff, v1
	v_lshl_or_b32 v1, v4, 16, v1
	global_store_dword v[8:9], v1, off
	global_load_dword v1, v[12:13], off offset:296
	v_lshrrev_b32_e32 v4, 16, v5
	v_add_co_u32_e32 v8, vcc, s8, v8
	v_addc_co_u32_e32 v9, vcc, v9, v0, vcc
	s_waitcnt vmcnt(0)
	v_mul_f16_sdwa v6, v4, v1 dst_sel:DWORD dst_unused:UNUSED_PAD src0_sel:DWORD src1_sel:WORD_1
	v_fma_f16 v6, v5, v1, v6
	v_mul_f16_sdwa v5, v5, v1 dst_sel:DWORD dst_unused:UNUSED_PAD src0_sel:DWORD src1_sel:WORD_1
	v_cvt_f32_f16_e32 v6, v6
	v_fma_f16 v1, v1, v4, -v5
	v_cvt_f32_f16_e32 v1, v1
	v_cvt_f64_f32_e32 v[4:5], v6
	v_cvt_f64_f32_e32 v[6:7], v1
	v_mul_f64 v[4:5], v[4:5], s[6:7]
	v_mul_f64 v[6:7], v[6:7], s[6:7]
	v_and_or_b32 v1, v5, s17, v4
	v_cmp_ne_u32_e32 vcc, 0, v1
	v_and_or_b32 v6, v7, s17, v6
	v_lshrrev_b32_e32 v4, 8, v5
	v_bfe_u32 v10, v5, 20, 11
	v_cndmask_b32_e64 v1, 0, 1, vcc
	v_cmp_ne_u32_e32 vcc, 0, v6
	v_lshrrev_b32_e32 v11, 8, v7
	v_bfe_u32 v14, v7, 20, 11
	v_sub_u32_e32 v15, 0x3f1, v10
	v_cndmask_b32_e64 v6, 0, 1, vcc
	v_and_or_b32 v1, v4, s14, v1
	v_sub_u32_e32 v16, 0x3f1, v14
	v_med3_i32 v4, v15, 0, 13
	v_and_or_b32 v6, v11, s14, v6
	v_or_b32_e32 v15, 0x1000, v1
	v_add_u32_e32 v10, 0xfffffc10, v10
	v_med3_i32 v11, v16, 0, 13
	v_cmp_ne_u32_e32 vcc, 0, v1
	v_or_b32_e32 v17, 0x1000, v6
	v_lshrrev_b32_e32 v19, v4, v15
	v_add_u32_e32 v14, 0xfffffc10, v14
	v_lshl_or_b32 v16, v10, 12, v1
	v_cndmask_b32_e64 v1, 0, 1, vcc
	v_cmp_ne_u32_e32 vcc, 0, v6
	v_lshrrev_b32_e32 v20, v11, v17
	v_lshlrev_b32_e32 v4, v4, v19
	v_lshl_or_b32 v18, v14, 12, v6
	v_cndmask_b32_e64 v6, 0, 1, vcc
	v_lshlrev_b32_e32 v11, v11, v20
	v_cmp_ne_u32_e32 vcc, v4, v15
	v_cndmask_b32_e64 v4, 0, 1, vcc
	v_cmp_ne_u32_e32 vcc, v11, v17
	v_cndmask_b32_e64 v11, 0, 1, vcc
	v_or_b32_e32 v4, v19, v4
	v_cmp_gt_i32_e32 vcc, 1, v10
	v_cndmask_b32_e32 v4, v16, v4, vcc
	v_or_b32_e32 v11, v20, v11
	v_cmp_gt_i32_e32 vcc, 1, v14
	v_and_b32_e32 v15, 7, v4
	v_cndmask_b32_e32 v11, v18, v11, vcc
	v_cmp_lt_i32_e32 vcc, 5, v15
	v_cmp_eq_u32_e64 s[0:1], 3, v15
	v_lshrrev_b32_e32 v4, 2, v4
	v_and_b32_e32 v16, 7, v11
	s_or_b64 vcc, s[0:1], vcc
	v_cmp_lt_i32_e64 s[2:3], 5, v16
	v_cmp_eq_u32_e64 s[4:5], 3, v16
	v_addc_co_u32_e32 v4, vcc, 0, v4, vcc
	v_lshrrev_b32_e32 v11, 2, v11
	s_or_b64 vcc, s[4:5], s[2:3]
	v_addc_co_u32_e32 v11, vcc, 0, v11, vcc
	v_cmp_gt_i32_e32 vcc, 31, v10
	v_cndmask_b32_e32 v4, v2, v4, vcc
	v_cmp_gt_i32_e32 vcc, 31, v14
	v_lshl_or_b32 v1, v1, 9, v2
	v_cndmask_b32_e32 v11, v2, v11, vcc
	v_cmp_eq_u32_e32 vcc, s15, v10
	v_lshrrev_b32_e32 v5, 16, v5
	v_lshl_or_b32 v6, v6, 9, v2
	v_cndmask_b32_e32 v1, v4, v1, vcc
	v_cmp_eq_u32_e32 vcc, s15, v14
	v_lshrrev_b32_e32 v7, 16, v7
	v_cndmask_b32_e32 v4, v11, v6, vcc
	v_and_or_b32 v1, v5, s16, v1
	v_and_or_b32 v4, v7, s16, v4
	v_and_b32_e32 v1, 0xffff, v1
	v_lshl_or_b32 v1, v4, 16, v1
	global_store_dword v[8:9], v1, off
	global_load_dword v1, v[12:13], off offset:872
	ds_read2_b32 v[3:4], v3 offset0:90 offset1:234
	v_add_co_u32_e32 v7, vcc, s8, v8
	v_addc_co_u32_e32 v8, vcc, v9, v0, vcc
	s_waitcnt lgkmcnt(0)
	v_lshrrev_b32_e32 v5, 16, v3
	s_waitcnt vmcnt(0)
	v_mul_f16_sdwa v6, v5, v1 dst_sel:DWORD dst_unused:UNUSED_PAD src0_sel:DWORD src1_sel:WORD_1
	v_fma_f16 v6, v3, v1, v6
	v_mul_f16_sdwa v3, v3, v1 dst_sel:DWORD dst_unused:UNUSED_PAD src0_sel:DWORD src1_sel:WORD_1
	v_cvt_f32_f16_e32 v6, v6
	v_fma_f16 v1, v1, v5, -v3
	v_cvt_f32_f16_e32 v1, v1
	v_cvt_f64_f32_e32 v[5:6], v6
	v_cvt_f64_f32_e32 v[10:11], v1
	v_mul_f64 v[5:6], v[5:6], s[6:7]
	v_mul_f64 v[10:11], v[10:11], s[6:7]
	v_and_or_b32 v1, v6, s17, v5
	v_cmp_ne_u32_e32 vcc, 0, v1
	v_and_or_b32 v9, v11, s17, v10
	v_lshrrev_b32_e32 v3, 8, v6
	v_bfe_u32 v5, v6, 20, 11
	v_cndmask_b32_e64 v1, 0, 1, vcc
	v_cmp_ne_u32_e32 vcc, 0, v9
	v_lshrrev_b32_e32 v10, 8, v11
	v_bfe_u32 v14, v11, 20, 11
	v_sub_u32_e32 v15, 0x3f1, v5
	v_cndmask_b32_e64 v9, 0, 1, vcc
	v_and_or_b32 v1, v3, s14, v1
	v_sub_u32_e32 v16, 0x3f1, v14
	v_med3_i32 v3, v15, 0, 13
	v_and_or_b32 v9, v10, s14, v9
	v_or_b32_e32 v15, 0x1000, v1
	v_add_u32_e32 v5, 0xfffffc10, v5
	v_med3_i32 v10, v16, 0, 13
	v_cmp_ne_u32_e32 vcc, 0, v1
	v_or_b32_e32 v17, 0x1000, v9
	v_lshrrev_b32_e32 v19, v3, v15
	v_add_u32_e32 v14, 0xfffffc10, v14
	v_lshl_or_b32 v16, v5, 12, v1
	v_cndmask_b32_e64 v1, 0, 1, vcc
	v_cmp_ne_u32_e32 vcc, 0, v9
	v_lshrrev_b32_e32 v20, v10, v17
	v_lshlrev_b32_e32 v3, v3, v19
	v_lshl_or_b32 v18, v14, 12, v9
	v_cndmask_b32_e64 v9, 0, 1, vcc
	v_lshlrev_b32_e32 v10, v10, v20
	v_cmp_ne_u32_e32 vcc, v3, v15
	v_cndmask_b32_e64 v3, 0, 1, vcc
	v_cmp_ne_u32_e32 vcc, v10, v17
	v_cndmask_b32_e64 v10, 0, 1, vcc
	v_or_b32_e32 v3, v19, v3
	v_cmp_gt_i32_e32 vcc, 1, v5
	v_cndmask_b32_e32 v3, v16, v3, vcc
	v_or_b32_e32 v10, v20, v10
	v_cmp_gt_i32_e32 vcc, 1, v14
	v_and_b32_e32 v15, 7, v3
	v_cndmask_b32_e32 v10, v18, v10, vcc
	v_cmp_lt_i32_e32 vcc, 5, v15
	v_cmp_eq_u32_e64 s[0:1], 3, v15
	v_lshrrev_b32_e32 v3, 2, v3
	v_and_b32_e32 v16, 7, v10
	s_or_b64 vcc, s[0:1], vcc
	v_cmp_lt_i32_e64 s[2:3], 5, v16
	v_cmp_eq_u32_e64 s[4:5], 3, v16
	v_addc_co_u32_e32 v3, vcc, 0, v3, vcc
	v_lshrrev_b32_e32 v10, 2, v10
	s_or_b64 vcc, s[4:5], s[2:3]
	v_addc_co_u32_e32 v10, vcc, 0, v10, vcc
	v_cmp_gt_i32_e32 vcc, 31, v5
	v_cndmask_b32_e32 v3, v2, v3, vcc
	v_cmp_gt_i32_e32 vcc, 31, v14
	v_lshl_or_b32 v1, v1, 9, v2
	v_cndmask_b32_e32 v10, v2, v10, vcc
	v_cmp_eq_u32_e32 vcc, s15, v5
	v_lshrrev_b32_e32 v6, 16, v6
	v_lshl_or_b32 v9, v9, 9, v2
	v_cndmask_b32_e32 v1, v3, v1, vcc
	v_cmp_eq_u32_e32 vcc, s15, v14
	v_lshrrev_b32_e32 v11, 16, v11
	v_cndmask_b32_e32 v3, v10, v9, vcc
	v_and_or_b32 v1, v6, s16, v1
	v_and_or_b32 v3, v11, s16, v3
	v_and_b32_e32 v1, 0xffff, v1
	v_lshl_or_b32 v1, v3, 16, v1
	global_store_dword v[7:8], v1, off
	global_load_dword v1, v[12:13], off offset:1448
	v_lshrrev_b32_e32 v3, 16, v4
	s_waitcnt vmcnt(0)
	v_mul_f16_sdwa v5, v3, v1 dst_sel:DWORD dst_unused:UNUSED_PAD src0_sel:DWORD src1_sel:WORD_1
	v_fma_f16 v5, v4, v1, v5
	v_mul_f16_sdwa v4, v4, v1 dst_sel:DWORD dst_unused:UNUSED_PAD src0_sel:DWORD src1_sel:WORD_1
	v_cvt_f32_f16_e32 v5, v5
	v_fma_f16 v1, v1, v3, -v4
	v_cvt_f32_f16_e32 v1, v1
	v_cvt_f64_f32_e32 v[3:4], v5
	v_cvt_f64_f32_e32 v[5:6], v1
	v_mul_f64 v[3:4], v[3:4], s[6:7]
	v_mul_f64 v[5:6], v[5:6], s[6:7]
	v_and_or_b32 v1, v4, s17, v3
	v_cmp_ne_u32_e32 vcc, 0, v1
	v_and_or_b32 v5, v6, s17, v5
	v_lshrrev_b32_e32 v3, 8, v4
	v_bfe_u32 v9, v4, 20, 11
	v_cndmask_b32_e64 v1, 0, 1, vcc
	v_cmp_ne_u32_e32 vcc, 0, v5
	v_lshrrev_b32_e32 v10, 8, v6
	v_bfe_u32 v11, v6, 20, 11
	v_sub_u32_e32 v12, 0x3f1, v9
	v_cndmask_b32_e64 v5, 0, 1, vcc
	v_and_or_b32 v1, v3, s14, v1
	v_sub_u32_e32 v13, 0x3f1, v11
	v_med3_i32 v3, v12, 0, 13
	v_and_or_b32 v5, v10, s14, v5
	v_or_b32_e32 v12, 0x1000, v1
	v_add_u32_e32 v9, 0xfffffc10, v9
	v_med3_i32 v10, v13, 0, 13
	v_cmp_ne_u32_e32 vcc, 0, v1
	v_or_b32_e32 v14, 0x1000, v5
	v_lshrrev_b32_e32 v16, v3, v12
	v_add_u32_e32 v11, 0xfffffc10, v11
	v_lshl_or_b32 v13, v9, 12, v1
	v_cndmask_b32_e64 v1, 0, 1, vcc
	v_cmp_ne_u32_e32 vcc, 0, v5
	v_lshrrev_b32_e32 v17, v10, v14
	v_lshlrev_b32_e32 v3, v3, v16
	v_lshl_or_b32 v15, v11, 12, v5
	v_cndmask_b32_e64 v5, 0, 1, vcc
	v_lshlrev_b32_e32 v10, v10, v17
	v_cmp_ne_u32_e32 vcc, v3, v12
	v_cndmask_b32_e64 v3, 0, 1, vcc
	v_cmp_ne_u32_e32 vcc, v10, v14
	v_cndmask_b32_e64 v10, 0, 1, vcc
	v_or_b32_e32 v3, v16, v3
	v_cmp_gt_i32_e32 vcc, 1, v9
	v_cndmask_b32_e32 v3, v13, v3, vcc
	v_or_b32_e32 v10, v17, v10
	v_cmp_gt_i32_e32 vcc, 1, v11
	v_and_b32_e32 v12, 7, v3
	v_cndmask_b32_e32 v10, v15, v10, vcc
	v_cmp_lt_i32_e32 vcc, 5, v12
	v_cmp_eq_u32_e64 s[0:1], 3, v12
	v_lshrrev_b32_e32 v3, 2, v3
	v_and_b32_e32 v13, 7, v10
	s_or_b64 vcc, s[0:1], vcc
	v_cmp_lt_i32_e64 s[2:3], 5, v13
	v_cmp_eq_u32_e64 s[4:5], 3, v13
	v_addc_co_u32_e32 v3, vcc, 0, v3, vcc
	v_lshrrev_b32_e32 v10, 2, v10
	s_or_b64 vcc, s[4:5], s[2:3]
	v_addc_co_u32_e32 v10, vcc, 0, v10, vcc
	v_cmp_gt_i32_e32 vcc, 31, v9
	v_cndmask_b32_e32 v3, v2, v3, vcc
	v_cmp_gt_i32_e32 vcc, 31, v11
	v_lshl_or_b32 v1, v1, 9, v2
	v_lshl_or_b32 v5, v5, 9, v2
	v_cndmask_b32_e32 v2, v2, v10, vcc
	v_cmp_eq_u32_e32 vcc, s15, v9
	v_lshrrev_b32_e32 v4, 16, v4
	v_cndmask_b32_e32 v1, v3, v1, vcc
	v_cmp_eq_u32_e32 vcc, s15, v11
	v_lshrrev_b32_e32 v6, 16, v6
	v_cndmask_b32_e32 v2, v2, v5, vcc
	v_and_or_b32 v1, v4, s16, v1
	v_and_or_b32 v2, v6, s16, v2
	v_and_b32_e32 v1, 0xffff, v1
	v_lshl_or_b32 v3, v2, 16, v1
	v_add_co_u32_e32 v1, vcc, s8, v7
	v_addc_co_u32_e32 v2, vcc, v8, v0, vcc
	global_store_dword v[1:2], v3, off
.LBB0_31:
	s_endpgm
	.section	.rodata,"a",@progbits
	.p2align	6, 0x0
	.amdhsa_kernel bluestein_single_fwd_len1440_dim1_half_op_CI_CI
		.amdhsa_group_segment_fixed_size 5760
		.amdhsa_private_segment_fixed_size 0
		.amdhsa_kernarg_size 104
		.amdhsa_user_sgpr_count 6
		.amdhsa_user_sgpr_private_segment_buffer 1
		.amdhsa_user_sgpr_dispatch_ptr 0
		.amdhsa_user_sgpr_queue_ptr 0
		.amdhsa_user_sgpr_kernarg_segment_ptr 1
		.amdhsa_user_sgpr_dispatch_id 0
		.amdhsa_user_sgpr_flat_scratch_init 0
		.amdhsa_user_sgpr_private_segment_size 0
		.amdhsa_uses_dynamic_stack 0
		.amdhsa_system_sgpr_private_segment_wavefront_offset 0
		.amdhsa_system_sgpr_workgroup_id_x 1
		.amdhsa_system_sgpr_workgroup_id_y 0
		.amdhsa_system_sgpr_workgroup_id_z 0
		.amdhsa_system_sgpr_workgroup_info 0
		.amdhsa_system_vgpr_workitem_id 0
		.amdhsa_next_free_vgpr 142
		.amdhsa_next_free_sgpr 21
		.amdhsa_reserve_vcc 1
		.amdhsa_reserve_flat_scratch 0
		.amdhsa_float_round_mode_32 0
		.amdhsa_float_round_mode_16_64 0
		.amdhsa_float_denorm_mode_32 3
		.amdhsa_float_denorm_mode_16_64 3
		.amdhsa_dx10_clamp 1
		.amdhsa_ieee_mode 1
		.amdhsa_fp16_overflow 0
		.amdhsa_exception_fp_ieee_invalid_op 0
		.amdhsa_exception_fp_denorm_src 0
		.amdhsa_exception_fp_ieee_div_zero 0
		.amdhsa_exception_fp_ieee_overflow 0
		.amdhsa_exception_fp_ieee_underflow 0
		.amdhsa_exception_fp_ieee_inexact 0
		.amdhsa_exception_int_div_zero 0
	.end_amdhsa_kernel
	.text
.Lfunc_end0:
	.size	bluestein_single_fwd_len1440_dim1_half_op_CI_CI, .Lfunc_end0-bluestein_single_fwd_len1440_dim1_half_op_CI_CI
                                        ; -- End function
	.section	.AMDGPU.csdata,"",@progbits
; Kernel info:
; codeLenInByte = 28316
; NumSgprs: 25
; NumVgprs: 142
; ScratchSize: 0
; MemoryBound: 0
; FloatMode: 240
; IeeeMode: 1
; LDSByteSize: 5760 bytes/workgroup (compile time only)
; SGPRBlocks: 3
; VGPRBlocks: 35
; NumSGPRsForWavesPerEU: 25
; NumVGPRsForWavesPerEU: 142
; Occupancy: 1
; WaveLimiterHint : 1
; COMPUTE_PGM_RSRC2:SCRATCH_EN: 0
; COMPUTE_PGM_RSRC2:USER_SGPR: 6
; COMPUTE_PGM_RSRC2:TRAP_HANDLER: 0
; COMPUTE_PGM_RSRC2:TGID_X_EN: 1
; COMPUTE_PGM_RSRC2:TGID_Y_EN: 0
; COMPUTE_PGM_RSRC2:TGID_Z_EN: 0
; COMPUTE_PGM_RSRC2:TIDIG_COMP_CNT: 0
	.type	__hip_cuid_c7242e6cfc0fe010,@object ; @__hip_cuid_c7242e6cfc0fe010
	.section	.bss,"aw",@nobits
	.globl	__hip_cuid_c7242e6cfc0fe010
__hip_cuid_c7242e6cfc0fe010:
	.byte	0                               ; 0x0
	.size	__hip_cuid_c7242e6cfc0fe010, 1

	.ident	"AMD clang version 19.0.0git (https://github.com/RadeonOpenCompute/llvm-project roc-6.4.0 25133 c7fe45cf4b819c5991fe208aaa96edf142730f1d)"
	.section	".note.GNU-stack","",@progbits
	.addrsig
	.addrsig_sym __hip_cuid_c7242e6cfc0fe010
	.amdgpu_metadata
---
amdhsa.kernels:
  - .args:
      - .actual_access:  read_only
        .address_space:  global
        .offset:         0
        .size:           8
        .value_kind:     global_buffer
      - .actual_access:  read_only
        .address_space:  global
        .offset:         8
        .size:           8
        .value_kind:     global_buffer
      - .actual_access:  read_only
        .address_space:  global
        .offset:         16
        .size:           8
        .value_kind:     global_buffer
      - .actual_access:  read_only
        .address_space:  global
        .offset:         24
        .size:           8
        .value_kind:     global_buffer
      - .actual_access:  read_only
        .address_space:  global
        .offset:         32
        .size:           8
        .value_kind:     global_buffer
      - .offset:         40
        .size:           8
        .value_kind:     by_value
      - .address_space:  global
        .offset:         48
        .size:           8
        .value_kind:     global_buffer
      - .address_space:  global
        .offset:         56
        .size:           8
        .value_kind:     global_buffer
      - .address_space:  global
        .offset:         64
        .size:           8
        .value_kind:     global_buffer
      - .address_space:  global
        .offset:         72
        .size:           8
        .value_kind:     global_buffer
      - .offset:         80
        .size:           4
        .value_kind:     by_value
      - .address_space:  global
        .offset:         88
        .size:           8
        .value_kind:     global_buffer
      - .address_space:  global
        .offset:         96
        .size:           8
        .value_kind:     global_buffer
    .group_segment_fixed_size: 5760
    .kernarg_segment_align: 8
    .kernarg_segment_size: 104
    .language:       OpenCL C
    .language_version:
      - 2
      - 0
    .max_flat_workgroup_size: 90
    .name:           bluestein_single_fwd_len1440_dim1_half_op_CI_CI
    .private_segment_fixed_size: 0
    .sgpr_count:     25
    .sgpr_spill_count: 0
    .symbol:         bluestein_single_fwd_len1440_dim1_half_op_CI_CI.kd
    .uniform_work_group_size: 1
    .uses_dynamic_stack: false
    .vgpr_count:     142
    .vgpr_spill_count: 0
    .wavefront_size: 64
amdhsa.target:   amdgcn-amd-amdhsa--gfx906
amdhsa.version:
  - 1
  - 2
...

	.end_amdgpu_metadata
